;; amdgpu-corpus repo=ROCm/rocFFT kind=compiled arch=gfx906 opt=O3
	.text
	.amdgcn_target "amdgcn-amd-amdhsa--gfx906"
	.amdhsa_code_object_version 6
	.protected	fft_rtc_fwd_len924_factors_2_2_3_7_11_wgs_44_tpt_44_halfLds_half_ip_CI_unitstride_sbrr_R2C_dirReg ; -- Begin function fft_rtc_fwd_len924_factors_2_2_3_7_11_wgs_44_tpt_44_halfLds_half_ip_CI_unitstride_sbrr_R2C_dirReg
	.globl	fft_rtc_fwd_len924_factors_2_2_3_7_11_wgs_44_tpt_44_halfLds_half_ip_CI_unitstride_sbrr_R2C_dirReg
	.p2align	8
	.type	fft_rtc_fwd_len924_factors_2_2_3_7_11_wgs_44_tpt_44_halfLds_half_ip_CI_unitstride_sbrr_R2C_dirReg,@function
fft_rtc_fwd_len924_factors_2_2_3_7_11_wgs_44_tpt_44_halfLds_half_ip_CI_unitstride_sbrr_R2C_dirReg: ; @fft_rtc_fwd_len924_factors_2_2_3_7_11_wgs_44_tpt_44_halfLds_half_ip_CI_unitstride_sbrr_R2C_dirReg
; %bb.0:
	s_load_dwordx2 s[12:13], s[4:5], 0x50
	s_load_dwordx4 s[8:11], s[4:5], 0x0
	s_load_dwordx2 s[2:3], s[4:5], 0x18
	v_mul_u32_u24_e32 v1, 0x5d2, v0
	v_add_u32_sdwa v5, s6, v1 dst_sel:DWORD dst_unused:UNUSED_PAD src0_sel:DWORD src1_sel:WORD_1
	v_mov_b32_e32 v3, 0
	s_waitcnt lgkmcnt(0)
	v_cmp_lt_u64_e64 s[0:1], s[10:11], 2
	v_mov_b32_e32 v1, 0
	v_mov_b32_e32 v6, v3
	s_and_b64 vcc, exec, s[0:1]
	v_mov_b32_e32 v2, 0
	s_cbranch_vccnz .LBB0_8
; %bb.1:
	s_load_dwordx2 s[0:1], s[4:5], 0x10
	s_add_u32 s6, s2, 8
	s_addc_u32 s7, s3, 0
	v_mov_b32_e32 v1, 0
	v_mov_b32_e32 v2, 0
	s_waitcnt lgkmcnt(0)
	s_add_u32 s14, s0, 8
	s_addc_u32 s15, s1, 0
	s_mov_b64 s[16:17], 1
.LBB0_2:                                ; =>This Inner Loop Header: Depth=1
	s_load_dwordx2 s[18:19], s[14:15], 0x0
                                        ; implicit-def: $vgpr7_vgpr8
	s_waitcnt lgkmcnt(0)
	v_or_b32_e32 v4, s19, v6
	v_cmp_ne_u64_e32 vcc, 0, v[3:4]
	s_and_saveexec_b64 s[0:1], vcc
	s_xor_b64 s[20:21], exec, s[0:1]
	s_cbranch_execz .LBB0_4
; %bb.3:                                ;   in Loop: Header=BB0_2 Depth=1
	v_cvt_f32_u32_e32 v4, s18
	v_cvt_f32_u32_e32 v7, s19
	s_sub_u32 s0, 0, s18
	s_subb_u32 s1, 0, s19
	v_mac_f32_e32 v4, 0x4f800000, v7
	v_rcp_f32_e32 v4, v4
	v_mul_f32_e32 v4, 0x5f7ffffc, v4
	v_mul_f32_e32 v7, 0x2f800000, v4
	v_trunc_f32_e32 v7, v7
	v_mac_f32_e32 v4, 0xcf800000, v7
	v_cvt_u32_f32_e32 v7, v7
	v_cvt_u32_f32_e32 v4, v4
	v_mul_lo_u32 v8, s0, v7
	v_mul_hi_u32 v9, s0, v4
	v_mul_lo_u32 v11, s1, v4
	v_mul_lo_u32 v10, s0, v4
	v_add_u32_e32 v8, v9, v8
	v_add_u32_e32 v8, v8, v11
	v_mul_hi_u32 v9, v4, v10
	v_mul_lo_u32 v11, v4, v8
	v_mul_hi_u32 v13, v4, v8
	v_mul_hi_u32 v12, v7, v10
	v_mul_lo_u32 v10, v7, v10
	v_mul_hi_u32 v14, v7, v8
	v_add_co_u32_e32 v9, vcc, v9, v11
	v_addc_co_u32_e32 v11, vcc, 0, v13, vcc
	v_mul_lo_u32 v8, v7, v8
	v_add_co_u32_e32 v9, vcc, v9, v10
	v_addc_co_u32_e32 v9, vcc, v11, v12, vcc
	v_addc_co_u32_e32 v10, vcc, 0, v14, vcc
	v_add_co_u32_e32 v8, vcc, v9, v8
	v_addc_co_u32_e32 v9, vcc, 0, v10, vcc
	v_add_co_u32_e32 v4, vcc, v4, v8
	v_addc_co_u32_e32 v7, vcc, v7, v9, vcc
	v_mul_lo_u32 v8, s0, v7
	v_mul_hi_u32 v9, s0, v4
	v_mul_lo_u32 v10, s1, v4
	v_mul_lo_u32 v11, s0, v4
	v_add_u32_e32 v8, v9, v8
	v_add_u32_e32 v8, v8, v10
	v_mul_lo_u32 v12, v4, v8
	v_mul_hi_u32 v13, v4, v11
	v_mul_hi_u32 v14, v4, v8
	;; [unrolled: 1-line block ×3, first 2 shown]
	v_mul_lo_u32 v11, v7, v11
	v_mul_hi_u32 v9, v7, v8
	v_add_co_u32_e32 v12, vcc, v13, v12
	v_addc_co_u32_e32 v13, vcc, 0, v14, vcc
	v_mul_lo_u32 v8, v7, v8
	v_add_co_u32_e32 v11, vcc, v12, v11
	v_addc_co_u32_e32 v10, vcc, v13, v10, vcc
	v_addc_co_u32_e32 v9, vcc, 0, v9, vcc
	v_add_co_u32_e32 v8, vcc, v10, v8
	v_addc_co_u32_e32 v9, vcc, 0, v9, vcc
	v_add_co_u32_e32 v4, vcc, v4, v8
	v_addc_co_u32_e32 v9, vcc, v7, v9, vcc
	v_mad_u64_u32 v[7:8], s[0:1], v5, v9, 0
	v_mul_hi_u32 v10, v5, v4
	v_add_co_u32_e32 v11, vcc, v10, v7
	v_addc_co_u32_e32 v12, vcc, 0, v8, vcc
	v_mad_u64_u32 v[7:8], s[0:1], v6, v4, 0
	v_mad_u64_u32 v[9:10], s[0:1], v6, v9, 0
	v_add_co_u32_e32 v4, vcc, v11, v7
	v_addc_co_u32_e32 v4, vcc, v12, v8, vcc
	v_addc_co_u32_e32 v7, vcc, 0, v10, vcc
	v_add_co_u32_e32 v4, vcc, v4, v9
	v_addc_co_u32_e32 v9, vcc, 0, v7, vcc
	v_mul_lo_u32 v10, s19, v4
	v_mul_lo_u32 v11, s18, v9
	v_mad_u64_u32 v[7:8], s[0:1], s18, v4, 0
	v_add3_u32 v8, v8, v11, v10
	v_sub_u32_e32 v10, v6, v8
	v_mov_b32_e32 v11, s19
	v_sub_co_u32_e32 v7, vcc, v5, v7
	v_subb_co_u32_e64 v10, s[0:1], v10, v11, vcc
	v_subrev_co_u32_e64 v11, s[0:1], s18, v7
	v_subbrev_co_u32_e64 v10, s[0:1], 0, v10, s[0:1]
	v_cmp_le_u32_e64 s[0:1], s19, v10
	v_cndmask_b32_e64 v12, 0, -1, s[0:1]
	v_cmp_le_u32_e64 s[0:1], s18, v11
	v_cndmask_b32_e64 v11, 0, -1, s[0:1]
	v_cmp_eq_u32_e64 s[0:1], s19, v10
	v_cndmask_b32_e64 v10, v12, v11, s[0:1]
	v_add_co_u32_e64 v11, s[0:1], 2, v4
	v_addc_co_u32_e64 v12, s[0:1], 0, v9, s[0:1]
	v_add_co_u32_e64 v13, s[0:1], 1, v4
	v_addc_co_u32_e64 v14, s[0:1], 0, v9, s[0:1]
	v_subb_co_u32_e32 v8, vcc, v6, v8, vcc
	v_cmp_ne_u32_e64 s[0:1], 0, v10
	v_cmp_le_u32_e32 vcc, s19, v8
	v_cndmask_b32_e64 v10, v14, v12, s[0:1]
	v_cndmask_b32_e64 v12, 0, -1, vcc
	v_cmp_le_u32_e32 vcc, s18, v7
	v_cndmask_b32_e64 v7, 0, -1, vcc
	v_cmp_eq_u32_e32 vcc, s19, v8
	v_cndmask_b32_e32 v7, v12, v7, vcc
	v_cmp_ne_u32_e32 vcc, 0, v7
	v_cndmask_b32_e64 v7, v13, v11, s[0:1]
	v_cndmask_b32_e32 v8, v9, v10, vcc
	v_cndmask_b32_e32 v7, v4, v7, vcc
.LBB0_4:                                ;   in Loop: Header=BB0_2 Depth=1
	s_andn2_saveexec_b64 s[0:1], s[20:21]
	s_cbranch_execz .LBB0_6
; %bb.5:                                ;   in Loop: Header=BB0_2 Depth=1
	v_cvt_f32_u32_e32 v4, s18
	s_sub_i32 s20, 0, s18
	v_rcp_iflag_f32_e32 v4, v4
	v_mul_f32_e32 v4, 0x4f7ffffe, v4
	v_cvt_u32_f32_e32 v4, v4
	v_mul_lo_u32 v7, s20, v4
	v_mul_hi_u32 v7, v4, v7
	v_add_u32_e32 v4, v4, v7
	v_mul_hi_u32 v4, v5, v4
	v_mul_lo_u32 v7, v4, s18
	v_add_u32_e32 v8, 1, v4
	v_sub_u32_e32 v7, v5, v7
	v_subrev_u32_e32 v9, s18, v7
	v_cmp_le_u32_e32 vcc, s18, v7
	v_cndmask_b32_e32 v7, v7, v9, vcc
	v_cndmask_b32_e32 v4, v4, v8, vcc
	v_add_u32_e32 v8, 1, v4
	v_cmp_le_u32_e32 vcc, s18, v7
	v_cndmask_b32_e32 v7, v4, v8, vcc
	v_mov_b32_e32 v8, v3
.LBB0_6:                                ;   in Loop: Header=BB0_2 Depth=1
	s_or_b64 exec, exec, s[0:1]
	v_mul_lo_u32 v4, v8, s18
	v_mul_lo_u32 v11, v7, s19
	v_mad_u64_u32 v[9:10], s[0:1], v7, s18, 0
	s_load_dwordx2 s[0:1], s[6:7], 0x0
	s_add_u32 s16, s16, 1
	v_add3_u32 v4, v10, v11, v4
	v_sub_co_u32_e32 v5, vcc, v5, v9
	v_subb_co_u32_e32 v4, vcc, v6, v4, vcc
	s_waitcnt lgkmcnt(0)
	v_mul_lo_u32 v4, s0, v4
	v_mul_lo_u32 v6, s1, v5
	v_mad_u64_u32 v[1:2], s[0:1], s0, v5, v[1:2]
	s_addc_u32 s17, s17, 0
	s_add_u32 s6, s6, 8
	v_add3_u32 v2, v6, v2, v4
	v_mov_b32_e32 v4, s10
	v_mov_b32_e32 v5, s11
	s_addc_u32 s7, s7, 0
	v_cmp_ge_u64_e32 vcc, s[16:17], v[4:5]
	s_add_u32 s14, s14, 8
	s_addc_u32 s15, s15, 0
	s_cbranch_vccnz .LBB0_9
; %bb.7:                                ;   in Loop: Header=BB0_2 Depth=1
	v_mov_b32_e32 v5, v7
	v_mov_b32_e32 v6, v8
	s_branch .LBB0_2
.LBB0_8:
	v_mov_b32_e32 v8, v6
	v_mov_b32_e32 v7, v5
.LBB0_9:
	s_lshl_b64 s[0:1], s[10:11], 3
	s_add_u32 s0, s2, s0
	s_addc_u32 s1, s3, s1
	s_load_dwordx2 s[2:3], s[0:1], 0x0
	s_load_dwordx2 s[6:7], s[4:5], 0x20
                                        ; implicit-def: $vgpr19
                                        ; implicit-def: $vgpr10
                                        ; implicit-def: $vgpr12
                                        ; implicit-def: $vgpr14
                                        ; implicit-def: $vgpr16
                                        ; implicit-def: $vgpr18
	s_waitcnt lgkmcnt(0)
	v_mad_u64_u32 v[3:4], s[0:1], s2, v7, v[1:2]
	s_mov_b32 s0, 0x5d1745e
	v_mul_hi_u32 v1, v0, s0
	v_mul_lo_u32 v5, s2, v8
	v_mul_lo_u32 v6, s3, v7
	v_cmp_gt_u64_e32 vcc, s[6:7], v[7:8]
	v_mul_u32_u24_e32 v1, 44, v1
	v_cmp_le_u64_e64 s[0:1], s[6:7], v[7:8]
	v_sub_u32_e32 v0, v0, v1
	v_add3_u32 v4, v6, v4, v5
	v_add_u32_e32 v2, 44, v0
                                        ; implicit-def: $vgpr8
                                        ; implicit-def: $vgpr7
                                        ; implicit-def: $vgpr6
	s_and_saveexec_b64 s[2:3], s[0:1]
	s_xor_b64 s[0:1], exec, s[2:3]
; %bb.10:
	v_add_u32_e32 v2, 44, v0
	v_add_u32_e32 v19, 0x58, v0
	v_add_u32_e32 v8, 0x84, v0
	v_add_u32_e32 v10, 0xb0, v0
	v_add_u32_e32 v12, 0xdc, v0
	v_add_u32_e32 v14, 0x108, v0
	v_add_u32_e32 v16, 0x134, v0
	v_add_u32_e32 v18, 0x160, v0
	v_add_u32_e32 v7, 0x18c, v0
	v_add_u32_e32 v6, 0x1b8, v0
; %bb.11:
	s_or_saveexec_b64 s[2:3], s[0:1]
	v_lshlrev_b64 v[4:5], 2, v[3:4]
	s_xor_b64 exec, exec, s[2:3]
	s_cbranch_execz .LBB0_13
; %bb.12:
	v_mov_b32_e32 v1, 0
	v_mov_b32_e32 v3, s13
	v_add_co_u32_e64 v8, s[0:1], s12, v4
	v_lshlrev_b64 v[6:7], 2, v[0:1]
	v_addc_co_u32_e64 v3, s[0:1], v3, v5, s[0:1]
	v_add_co_u32_e64 v6, s[0:1], v8, v6
	v_addc_co_u32_e64 v7, s[0:1], v3, v7, s[0:1]
	global_load_dword v1, v[6:7], off offset:1056
	global_load_dword v3, v[6:7], off offset:1232
	;; [unrolled: 1-line block ×14, first 2 shown]
	global_load_dword v27, v[6:7], off
	global_load_dword v28, v[6:7], off offset:176
	global_load_dword v29, v[6:7], off offset:352
	;; [unrolled: 1-line block ×6, first 2 shown]
	v_lshl_add_u32 v6, v0, 2, 0
	v_add_u32_e32 v34, 0x400, v6
	v_add_u32_e32 v19, 0x58, v0
	;; [unrolled: 1-line block ×11, first 2 shown]
	s_waitcnt vmcnt(19)
	ds_write2_b32 v34, v1, v3 offset0:8 offset1:52
	s_waitcnt vmcnt(17)
	ds_write2_b32 v34, v9, v11 offset0:96 offset1:140
	;; [unrolled: 2-line block ×7, first 2 shown]
	s_waitcnt vmcnt(5)
	ds_write2_b32 v6, v27, v28 offset1:44
	s_waitcnt vmcnt(3)
	ds_write2_b32 v6, v29, v30 offset0:88 offset1:132
	s_waitcnt vmcnt(1)
	ds_write2_b32 v6, v31, v32 offset0:176 offset1:220
	s_waitcnt vmcnt(0)
	ds_write_b32 v6, v33 offset:3520
	v_add_u32_e32 v6, 0x1b8, v0
.LBB0_13:
	s_or_b64 exec, exec, s[2:3]
	v_lshlrev_b32_e32 v1, 2, v0
	v_add_u32_e32 v40, 0, v1
	v_add_u32_e32 v3, 0x600, v40
	s_waitcnt lgkmcnt(0)
	; wave barrier
	s_waitcnt lgkmcnt(0)
	v_add_u32_e32 v20, 0x400, v40
	v_add_u32_e32 v17, 0xc00, v40
	;; [unrolled: 1-line block ×3, first 2 shown]
	ds_read2_b32 v[22:23], v3 offset0:122 offset1:166
	ds_read2_b32 v[24:25], v20 offset0:184 offset1:206
	;; [unrolled: 1-line block ×9, first 2 shown]
	ds_read2_b32 v[43:44], v40 offset1:44
	ds_read2_b32 v[45:46], v40 offset0:88 offset1:132
	v_add_u32_e32 v3, v40, v1
	s_waitcnt lgkmcnt(0)
	; wave barrier
	s_waitcnt lgkmcnt(0)
	v_pk_add_f16 v9, v43, v25 neg_lo:[0,1] neg_hi:[0,1]
	v_pk_fma_f16 v11, v43, 2.0, v9 op_sel_hi:[1,0,1] neg_lo:[0,0,1] neg_hi:[0,0,1]
	ds_write2_b32 v3, v11, v9 offset1:1
	v_pk_add_f16 v3, v44, v22 neg_lo:[0,1] neg_hi:[0,1]
	v_pk_fma_f16 v9, v44, 2.0, v3 op_sel_hi:[1,0,1] neg_lo:[0,0,1] neg_hi:[0,0,1]
	v_lshl_add_u32 v13, v2, 3, 0
	ds_write2_b32 v13, v9, v3 offset1:1
	v_pk_add_f16 v3, v45, v23 neg_lo:[0,1] neg_hi:[0,1]
	v_lshl_add_u32 v30, v19, 3, 0
	v_pk_fma_f16 v9, v45, 2.0, v3 op_sel_hi:[1,0,1] neg_lo:[0,0,1] neg_hi:[0,0,1]
	ds_write2_b32 v30, v9, v3 offset1:1
	v_pk_add_f16 v3, v46, v31 neg_lo:[0,1] neg_hi:[0,1]
	v_pk_fma_f16 v9, v46, 2.0, v3 op_sel_hi:[1,0,1] neg_lo:[0,0,1] neg_hi:[0,0,1]
	v_lshl_add_u32 v31, v8, 3, 0
	ds_write2_b32 v31, v9, v3 offset1:1
	v_pk_add_f16 v3, v41, v32 neg_lo:[0,1] neg_hi:[0,1]
	v_lshl_add_u32 v32, v10, 3, 0
	;; [unrolled: 8-line block ×4, first 2 shown]
	v_pk_fma_f16 v9, v28, 2.0, v3 op_sel_hi:[1,0,1] neg_lo:[0,0,1] neg_hi:[0,0,1]
	ds_write2_b32 v41, v9, v3 offset1:1
	v_pk_add_f16 v3, v29, v26 neg_lo:[0,1] neg_hi:[0,1]
	v_pk_fma_f16 v9, v29, 2.0, v3 op_sel_hi:[1,0,1] neg_lo:[0,0,1] neg_hi:[0,0,1]
	v_lshl_add_u32 v15, v7, 3, 0
	ds_write2_b32 v15, v9, v3 offset1:1
	v_pk_add_f16 v9, v24, v27 neg_lo:[0,1] neg_hi:[0,1]
	v_pk_fma_f16 v35, v24, 2.0, v9 op_sel_hi:[1,0,1] neg_lo:[0,0,1] neg_hi:[0,0,1]
	v_cmp_gt_u32_e64 s[0:1], 22, v0
	s_and_saveexec_b64 s[2:3], s[0:1]
	s_cbranch_execz .LBB0_15
; %bb.14:
	v_lshl_add_u32 v3, v6, 3, 0
	ds_write2_b32 v3, v35, v9 offset1:1
.LBB0_15:
	s_or_b64 exec, exec, s[2:3]
	v_lshlrev_b32_e32 v37, 2, v19
	v_sub_u32_e32 v3, v30, v37
	v_lshlrev_b32_e32 v39, 2, v8
	v_lshlrev_b32_e32 v44, 2, v10
	;; [unrolled: 1-line block ×5, first 2 shown]
	s_waitcnt lgkmcnt(0)
	; wave barrier
	s_waitcnt lgkmcnt(0)
	v_sub_u32_e32 v23, v31, v39
	v_sub_u32_e32 v24, v32, v44
	;; [unrolled: 1-line block ×5, first 2 shown]
	ds_read_b32 v50, v3
	ds_read_b32 v51, v23
	;; [unrolled: 1-line block ×6, first 2 shown]
	v_lshlrev_b32_e32 v3, 2, v18
	v_lshlrev_b32_e32 v36, 2, v2
	v_sub_u32_e32 v23, v41, v3
	v_lshlrev_b32_e32 v69, 2, v7
	v_sub_u32_e32 v22, v13, v36
	v_sub_u32_e32 v24, v15, v69
	ds_read_b32 v46, v23
	ds_read_b32 v54, v24
	;; [unrolled: 1-line block ×4, first 2 shown]
	ds_read2_b32 v[28:29], v20 offset0:206 offset1:250
	ds_read2_b32 v[26:27], v21 offset0:38 offset1:82
	;; [unrolled: 1-line block ×3, first 2 shown]
	v_add_u32_e32 v20, 0xa00, v40
	ds_read2_b32 v[22:23], v20 offset0:86 offset1:130
	ds_read2_b32 v[20:21], v17 offset0:46 offset1:90
	v_lshlrev_b32_e32 v59, 1, v2
	v_lshlrev_b32_e32 v60, 1, v19
	;; [unrolled: 1-line block ×9, first 2 shown]
	v_lshrrev_b32_e32 v57, 16, v9
	v_lshl_add_u32 v42, v6, 2, 0
	s_and_saveexec_b64 s[2:3], s[0:1]
	s_cbranch_execz .LBB0_17
; %bb.16:
	ds_read_b32 v9, v40 offset:3608
	ds_read_b32 v35, v42
	s_waitcnt lgkmcnt(1)
	v_lshrrev_b32_e32 v57, 16, v9
.LBB0_17:
	s_or_b64 exec, exec, s[2:3]
	v_and_b32_e32 v56, 1, v0
	v_lshlrev_b32_e32 v17, 2, v56
	global_load_dword v70, v17, s[8:9]
	v_sub_u32_e32 v17, 0, v69
	s_mov_b32 s7, 0xffff
	v_sub_u32_e32 v45, 0, v36
	v_sub_u32_e32 v36, 0, v48
	;; [unrolled: 1-line block ×3, first 2 shown]
	v_lshlrev_b32_e32 v66, 1, v0
	s_movk_i32 s2, 0x7c
	s_movk_i32 s3, 0xfc
	;; [unrolled: 1-line block ×3, first 2 shown]
	v_and_or_b32 v66, v66, s2, v56
	v_and_or_b32 v59, v59, s3, v56
	;; [unrolled: 1-line block ×5, first 2 shown]
	v_lshl_add_u32 v66, v66, 2, 0
	v_lshl_add_u32 v59, v59, 2, 0
	;; [unrolled: 1-line block ×5, first 2 shown]
	s_waitcnt lgkmcnt(0)
	; wave barrier
	s_waitcnt lgkmcnt(0)
	s_movk_i32 s4, 0x3fc
	v_and_or_b32 v63, v63, s4, v56
	v_lshl_add_u32 v63, v63, 2, 0
	s_movk_i32 s6, 0x2fc
	v_and_or_b32 v64, v64, s6, v56
	v_lshl_add_u32 v64, v64, 2, 0
	v_and_or_b32 v65, v65, s6, v56
	v_lshl_add_u32 v65, v65, 2, 0
	v_sub_u32_e32 v38, 0, v37
	v_sub_u32_e32 v37, 0, v58
	v_lshrrev_b32_e32 v58, 16, v35
	v_and_or_b32 v67, v67, s4, v56
	v_sub_u32_e32 v39, 0, v39
	v_sub_u32_e32 v44, 0, v44
	v_and_or_b32 v68, v68, s4, v56
	v_lshl_add_u32 v67, v67, 2, 0
	v_lshl_add_u32 v68, v68, 2, 0
	s_waitcnt vmcnt(0)
	v_pk_mul_f16 v69, v70, v21 op_sel:[0,1]
	v_pk_mul_f16 v73, v70, v28 op_sel:[0,1]
	v_mul_f16_sdwa v71, v57, v70 dst_sel:DWORD dst_unused:UNUSED_PAD src0_sel:DWORD src1_sel:WORD_1
	v_mul_f16_sdwa v72, v9, v70 dst_sel:DWORD dst_unused:UNUSED_PAD src0_sel:DWORD src1_sel:WORD_1
	v_pk_mul_f16 v74, v70, v29 op_sel:[0,1]
	v_pk_mul_f16 v75, v70, v26 op_sel:[0,1]
	;; [unrolled: 1-line block ×4, first 2 shown]
	v_pk_fma_f16 v78, v70, v21, v69 op_sel:[0,0,1] op_sel_hi:[1,1,0] neg_lo:[0,0,1] neg_hi:[0,0,1]
	v_pk_fma_f16 v21, v70, v21, v69 op_sel:[0,0,1] op_sel_hi:[1,0,0]
	v_pk_fma_f16 v69, v70, v28, v73 op_sel:[0,0,1] op_sel_hi:[1,1,0] neg_lo:[0,0,1] neg_hi:[0,0,1]
	v_pk_fma_f16 v28, v70, v28, v73 op_sel:[0,0,1] op_sel_hi:[1,0,0]
	v_fma_f16 v9, v9, v70, -v71
	v_fma_f16 v57, v57, v70, v72
	v_pk_fma_f16 v71, v70, v29, v74 op_sel:[0,0,1] op_sel_hi:[1,1,0] neg_lo:[0,0,1] neg_hi:[0,0,1]
	v_pk_fma_f16 v29, v70, v29, v74 op_sel:[0,0,1] op_sel_hi:[1,0,0]
	v_pk_fma_f16 v72, v70, v26, v75 op_sel:[0,0,1] op_sel_hi:[1,1,0] neg_lo:[0,0,1] neg_hi:[0,0,1]
	v_pk_fma_f16 v26, v70, v26, v75 op_sel:[0,0,1] op_sel_hi:[1,0,0]
	;; [unrolled: 2-line block ×4, first 2 shown]
	v_bfi_b32 v28, s7, v69, v28
	v_bfi_b32 v29, s7, v71, v29
	;; [unrolled: 1-line block ×5, first 2 shown]
	v_pk_add_f16 v28, v55, v28 neg_lo:[0,1] neg_hi:[0,1]
	v_pk_add_f16 v29, v53, v29 neg_lo:[0,1] neg_hi:[0,1]
	;; [unrolled: 1-line block ×5, first 2 shown]
	v_pk_fma_f16 v55, v55, 2.0, v28 op_sel_hi:[1,0,1] neg_lo:[0,0,1] neg_hi:[0,0,1]
	v_pk_fma_f16 v53, v53, 2.0, v29 op_sel_hi:[1,0,1] neg_lo:[0,0,1] neg_hi:[0,0,1]
	;; [unrolled: 1-line block ×5, first 2 shown]
	ds_write2_b32 v66, v55, v28 offset1:2
	ds_write2_b32 v59, v53, v29 offset1:2
	;; [unrolled: 1-line block ×5, first 2 shown]
	v_pk_mul_f16 v24, v70, v25 op_sel:[0,1]
	v_pk_fma_f16 v26, v70, v25, v24 op_sel:[0,0,1] op_sel_hi:[1,1,0] neg_lo:[0,0,1] neg_hi:[0,0,1]
	v_pk_fma_f16 v24, v70, v25, v24 op_sel:[0,0,1] op_sel_hi:[1,0,0]
	v_bfi_b32 v24, s7, v26, v24
	v_pk_add_f16 v24, v49, v24 neg_lo:[0,1] neg_hi:[0,1]
	v_pk_fma_f16 v25, v49, 2.0, v24 op_sel_hi:[1,0,1] neg_lo:[0,0,1] neg_hi:[0,0,1]
	ds_write2_b32 v63, v25, v24 offset1:2
	v_pk_mul_f16 v24, v70, v22 op_sel:[0,1]
	v_pk_fma_f16 v25, v70, v22, v24 op_sel:[0,0,1] op_sel_hi:[1,1,0] neg_lo:[0,0,1] neg_hi:[0,0,1]
	v_pk_fma_f16 v22, v70, v22, v24 op_sel:[0,0,1] op_sel_hi:[1,0,0]
	v_bfi_b32 v22, s7, v25, v22
	v_pk_add_f16 v22, v47, v22 neg_lo:[0,1] neg_hi:[0,1]
	v_pk_fma_f16 v24, v47, 2.0, v22 op_sel_hi:[1,0,1] neg_lo:[0,0,1] neg_hi:[0,0,1]
	ds_write2_b32 v64, v24, v22 offset1:2
	;; [unrolled: 7-line block ×3, first 2 shown]
	v_pk_mul_f16 v22, v70, v20 op_sel:[0,1]
	v_pk_fma_f16 v23, v70, v20, v22 op_sel:[0,0,1] op_sel_hi:[1,1,0] neg_lo:[0,0,1] neg_hi:[0,0,1]
	v_pk_fma_f16 v20, v70, v20, v22 op_sel:[0,0,1] op_sel_hi:[1,0,0]
	v_bfi_b32 v20, s7, v23, v20
	v_bfi_b32 v75, s7, v78, v21
	v_pk_add_f16 v20, v46, v20 neg_lo:[0,1] neg_hi:[0,1]
	v_sub_f16_e32 v21, v35, v9
	v_sub_f16_e32 v9, v58, v57
	v_pk_add_f16 v57, v54, v75 neg_lo:[0,1] neg_hi:[0,1]
	v_pk_fma_f16 v22, v46, 2.0, v20 op_sel_hi:[1,0,1] neg_lo:[0,0,1] neg_hi:[0,0,1]
	v_pk_fma_f16 v54, v54, 2.0, v57 op_sel_hi:[1,0,1] neg_lo:[0,0,1] neg_hi:[0,0,1]
	ds_write2_b32 v67, v22, v20 offset1:2
	ds_write2_b32 v68, v54, v57 offset1:2
	s_and_saveexec_b64 s[2:3], s[0:1]
	s_cbranch_execz .LBB0_19
; %bb.18:
	v_lshlrev_b32_e32 v20, 1, v6
	v_and_or_b32 v20, v20, s4, v56
	v_fma_f16 v22, v35, 2.0, -v21
	v_fma_f16 v23, v58, 2.0, -v9
	s_mov_b32 s4, 0x5040100
	v_lshl_add_u32 v20, v20, 2, 0
	v_pack_b32_f16 v22, v22, v23
	v_perm_b32 v23, v9, v21, s4
	ds_write2_b32 v20, v22, v23 offset1:2
.LBB0_19:
	s_or_b64 exec, exec, s[2:3]
	v_and_b32_e32 v20, 3, v0
	v_lshlrev_b32_e32 v22, 3, v20
	s_waitcnt lgkmcnt(0)
	; wave barrier
	s_waitcnt lgkmcnt(0)
	global_load_dwordx2 v[22:23], v22, s[8:9] offset:8
	v_add_u32_e32 v43, v11, v48
	v_add_u32_e32 v11, 0x800, v40
	ds_read_b32 v50, v40
	v_add_u32_e32 v49, v13, v45
	v_add_u32_e32 v13, 0x400, v40
	v_add_u32_e32 v48, v30, v38
	v_add_u32_e32 v47, v31, v39
	v_add_u32_e32 v46, v32, v44
	v_add_u32_e32 v51, 0xc00, v40
	v_add_u32_e32 v45, v33, v36
	v_add_u32_e32 v44, v34, v37
	ds_read2_b32 v[24:25], v11 offset0:104 offset1:148
	ds_read2_b32 v[26:27], v13 offset0:96 offset1:140
	;; [unrolled: 1-line block ×5, first 2 shown]
	ds_read_b32 v36, v48
	ds_read_b32 v37, v47
	;; [unrolled: 1-line block ×4, first 2 shown]
	ds_read2_b32 v[34:35], v11 offset0:16 offset1:60
	ds_read_b32 v52, v49
	ds_read_b32 v53, v44
	;; [unrolled: 1-line block ×3, first 2 shown]
	ds_read_b32 v55, v40 offset:3520
	s_waitcnt lgkmcnt(10)
	v_lshrrev_b32_e32 v65, 16, v31
	s_waitcnt lgkmcnt(9)
	v_lshrrev_b32_e32 v66, 16, v32
	;; [unrolled: 2-line block ×4, first 2 shown]
	v_lshrrev_b32_e32 v69, 16, v33
	v_lshrrev_b32_e32 v71, 16, v35
	;; [unrolled: 1-line block ×6, first 2 shown]
	s_waitcnt lgkmcnt(0)
	v_lshrrev_b32_e32 v72, 16, v55
	v_lshrrev_b32_e32 v60, 16, v28
	;; [unrolled: 1-line block ×5, first 2 shown]
	s_movk_i32 s2, 0x3aee
	s_mov_b32 s3, 0xbaee
	v_lshrrev_b32_e32 v57, 16, v52
	v_lshrrev_b32_e32 v58, 16, v36
	;; [unrolled: 1-line block ×6, first 2 shown]
	s_waitcnt lgkmcnt(0)
	; wave barrier
	s_movk_i32 s7, 0x2b26
	s_movk_i32 s10, 0x39e0
	s_mov_b32 s11, 0xb9e0
	s_movk_i32 s4, 0x3b00
	s_movk_i32 s5, 0x3574
	s_mov_b32 s6, 0xb574
	s_waitcnt vmcnt(0)
	v_mul_f16_sdwa v77, v22, v73 dst_sel:DWORD dst_unused:UNUSED_PAD src0_sel:WORD_1 src1_sel:DWORD
	v_mul_f16_sdwa v93, v65, v22 dst_sel:DWORD dst_unused:UNUSED_PAD src0_sel:DWORD src1_sel:WORD_1
	v_mul_f16_sdwa v86, v22, v54 dst_sel:DWORD dst_unused:UNUSED_PAD src0_sel:WORD_1 src1_sel:DWORD
	v_fma_f16 v54, v22, v54, -v77
	v_fma_f16 v77, v31, v22, -v93
	v_mul_f16_sdwa v31, v31, v22 dst_sel:DWORD dst_unused:UNUSED_PAD src0_sel:DWORD src1_sel:WORD_1
	v_fma_f16 v31, v65, v22, v31
	v_mul_f16_sdwa v65, v66, v23 dst_sel:DWORD dst_unused:UNUSED_PAD src0_sel:DWORD src1_sel:WORD_1
	v_fma_f16 v65, v32, v23, -v65
	v_mul_f16_sdwa v32, v32, v23 dst_sel:DWORD dst_unused:UNUSED_PAD src0_sel:DWORD src1_sel:WORD_1
	v_fma_f16 v32, v66, v23, v32
	v_mul_f16_sdwa v66, v68, v22 dst_sel:DWORD dst_unused:UNUSED_PAD src0_sel:DWORD src1_sel:WORD_1
	;; [unrolled: 4-line block ×4, first 2 shown]
	v_mul_f16_sdwa v78, v23, v74 dst_sel:DWORD dst_unused:UNUSED_PAD src0_sel:WORD_1 src1_sel:DWORD
	v_mul_f16_sdwa v80, v22, v75 dst_sel:DWORD dst_unused:UNUSED_PAD src0_sel:WORD_1 src1_sel:DWORD
	;; [unrolled: 1-line block ×3, first 2 shown]
	v_mul_f16_sdwa v84, v59, v22 dst_sel:DWORD dst_unused:UNUSED_PAD src0_sel:DWORD src1_sel:WORD_1
	v_mul_f16_sdwa v85, v27, v22 dst_sel:DWORD dst_unused:UNUSED_PAD src0_sel:DWORD src1_sel:WORD_1
	;; [unrolled: 1-line block ×4, first 2 shown]
	v_fma_f16 v69, v35, v22, -v69
	v_mul_f16_sdwa v35, v35, v22 dst_sel:DWORD dst_unused:UNUSED_PAD src0_sel:DWORD src1_sel:WORD_1
	v_mul_f16_sdwa v79, v23, v24 dst_sel:DWORD dst_unused:UNUSED_PAD src0_sel:WORD_1 src1_sel:DWORD
	v_fma_f16 v24, v23, v24, -v78
	v_fma_f16 v26, v22, v26, -v80
	;; [unrolled: 1-line block ×3, first 2 shown]
	v_fma_f16 v73, v22, v73, v86
	v_fma_f16 v75, v22, v75, v81
	;; [unrolled: 1-line block ×3, first 2 shown]
	v_fma_f16 v30, v30, v22, -v89
	v_fma_f16 v62, v62, v22, v90
	v_fma_f16 v22, v71, v22, v35
	v_mul_f16_sdwa v35, v72, v23 dst_sel:DWORD dst_unused:UNUSED_PAD src0_sel:DWORD src1_sel:WORD_1
	v_mul_f16_sdwa v82, v23, v76 dst_sel:DWORD dst_unused:UNUSED_PAD src0_sel:WORD_1 src1_sel:DWORD
	v_mul_f16_sdwa v83, v23, v25 dst_sel:DWORD dst_unused:UNUSED_PAD src0_sel:WORD_1 src1_sel:DWORD
	v_mul_f16_sdwa v87, v60, v23 dst_sel:DWORD dst_unused:UNUSED_PAD src0_sel:DWORD src1_sel:WORD_1
	v_mul_f16_sdwa v88, v28, v23 dst_sel:DWORD dst_unused:UNUSED_PAD src0_sel:DWORD src1_sel:WORD_1
	;; [unrolled: 1-line block ×4, first 2 shown]
	v_fma_f16 v74, v23, v74, v79
	v_fma_f16 v35, v55, v23, -v35
	v_mul_f16_sdwa v55, v55, v23 dst_sel:DWORD dst_unused:UNUSED_PAD src0_sel:DWORD src1_sel:WORD_1
	v_add_f16_e32 v71, v54, v24
	v_fma_f16 v25, v23, v25, -v82
	v_fma_f16 v76, v23, v76, v83
	v_fma_f16 v60, v60, v23, v88
	v_fma_f16 v28, v28, v23, -v87
	v_fma_f16 v29, v29, v23, -v91
	v_fma_f16 v63, v63, v23, v92
	v_fma_f16 v23, v72, v23, v55
	v_add_f16_e32 v55, v50, v54
	v_fma_f16 v50, v71, -0.5, v50
	v_sub_f16_e32 v71, v73, v74
	v_fma_f16 v72, v71, s2, v50
	v_fma_f16 v50, v71, s3, v50
	v_add_f16_e32 v71, v56, v73
	v_add_f16_e32 v73, v73, v74
	;; [unrolled: 1-line block ×3, first 2 shown]
	v_fma_f16 v56, v73, -0.5, v56
	v_sub_f16_e32 v24, v54, v24
	v_add_f16_e32 v73, v26, v25
	v_fma_f16 v54, v24, s3, v56
	v_fma_f16 v24, v24, s2, v56
	v_add_f16_e32 v56, v52, v26
	v_fma_f16 v52, v73, -0.5, v52
	v_sub_f16_e32 v73, v75, v76
	v_add_f16_e32 v71, v71, v74
	v_fma_f16 v74, v73, s2, v52
	v_fma_f16 v52, v73, s3, v52
	v_add_f16_e32 v73, v57, v75
	v_add_f16_e32 v75, v75, v76
	;; [unrolled: 1-line block ×3, first 2 shown]
	v_fma_f16 v57, v75, -0.5, v57
	v_sub_f16_e32 v25, v26, v25
	v_add_f16_e32 v75, v27, v28
	v_fma_f16 v26, v25, s3, v57
	v_fma_f16 v25, v25, s2, v57
	v_add_f16_e32 v57, v36, v27
	v_fma_f16 v36, v75, -0.5, v36
	v_sub_f16_e32 v75, v59, v60
	v_add_f16_e32 v73, v73, v76
	v_fma_f16 v76, v75, s2, v36
	v_fma_f16 v36, v75, s3, v36
	v_add_f16_e32 v75, v58, v59
	v_add_f16_e32 v59, v59, v60
	v_fma_f16 v58, v59, -0.5, v58
	v_sub_f16_e32 v27, v27, v28
	v_add_f16_e32 v59, v30, v29
	v_add_f16_e32 v57, v57, v28
	v_fma_f16 v28, v27, s3, v58
	v_fma_f16 v27, v27, s2, v58
	v_add_f16_e32 v58, v37, v30
	v_fma_f16 v37, v59, -0.5, v37
	v_sub_f16_e32 v59, v62, v63
	v_add_f16_e32 v75, v75, v60
	v_fma_f16 v60, v59, s2, v37
	v_fma_f16 v37, v59, s3, v37
	v_add_f16_e32 v59, v61, v62
	v_add_f16_e32 v62, v62, v63
	;; [unrolled: 1-line block ×3, first 2 shown]
	v_fma_f16 v61, v62, -0.5, v61
	v_sub_f16_e32 v29, v30, v29
	v_add_f16_e32 v62, v77, v65
	v_fma_f16 v30, v29, s3, v61
	v_fma_f16 v29, v29, s2, v61
	v_add_f16_e32 v61, v38, v77
	v_fma_f16 v38, v62, -0.5, v38
	v_sub_f16_e32 v62, v31, v32
	v_add_f16_e32 v59, v59, v63
	v_fma_f16 v63, v62, s2, v38
	v_fma_f16 v38, v62, s3, v38
	v_add_f16_e32 v62, v64, v31
	v_add_f16_e32 v31, v31, v32
	;; [unrolled: 1-line block ×4, first 2 shown]
	v_fma_f16 v31, v31, -0.5, v64
	v_sub_f16_e32 v32, v77, v65
	v_add_f16_e32 v65, v66, v68
	v_fma_f16 v64, v32, s3, v31
	v_fma_f16 v31, v32, s2, v31
	v_add_f16_e32 v32, v39, v66
	v_fma_f16 v39, v65, -0.5, v39
	v_sub_f16_e32 v65, v34, v33
	v_fma_f16 v77, v65, s2, v39
	v_fma_f16 v39, v65, s3, v39
	v_add_f16_e32 v65, v67, v34
	v_add_f16_e32 v65, v65, v33
	;; [unrolled: 1-line block ×3, first 2 shown]
	v_fma_f16 v33, v33, -0.5, v67
	v_sub_f16_e32 v34, v66, v68
	v_add_f16_e32 v67, v69, v35
	v_fma_f16 v66, v34, s3, v33
	v_fma_f16 v33, v34, s2, v33
	v_add_f16_e32 v34, v53, v69
	v_fma_f16 v53, v67, -0.5, v53
	v_sub_f16_e32 v67, v22, v23
	v_add_f16_e32 v32, v32, v68
	v_fma_f16 v68, v67, s2, v53
	v_fma_f16 v53, v67, s3, v53
	v_add_f16_e32 v67, v70, v22
	v_add_f16_e32 v22, v22, v23
	;; [unrolled: 1-line block ×3, first 2 shown]
	v_fma_f16 v22, v22, -0.5, v70
	v_sub_f16_e32 v23, v69, v35
	v_lshrrev_b32_e32 v69, 2, v2
	v_add_f16_e32 v34, v34, v35
	v_fma_f16 v35, v23, s3, v22
	v_fma_f16 v22, v23, s2, v22
	v_lshrrev_b32_e32 v23, 2, v0
	v_mul_lo_u32 v69, v69, 12
	v_mul_u32_u24_e32 v23, 12, v23
	v_or_b32_e32 v23, v23, v20
	v_lshl_add_u32 v23, v23, 2, 0
	v_pack_b32_f16 v55, v55, v71
	v_pack_b32_f16 v54, v72, v54
	;; [unrolled: 1-line block ×3, first 2 shown]
	v_lshrrev_b32_e32 v50, 2, v19
	ds_write2_b32 v23, v55, v54 offset1:4
	ds_write_b32 v23, v24 offset:32
	v_or_b32_e32 v23, v69, v20
	v_mul_lo_u32 v50, v50, 12
	v_lshl_add_u32 v23, v23, 2, 0
	v_pack_b32_f16 v24, v56, v73
	v_pack_b32_f16 v26, v74, v26
	ds_write2_b32 v23, v24, v26 offset1:4
	v_lshrrev_b32_e32 v26, 2, v8
	v_pack_b32_f16 v24, v52, v25
	v_mul_lo_u32 v26, v26, 12
	ds_write_b32 v23, v24 offset:32
	v_or_b32_e32 v23, v50, v20
	v_lshl_add_u32 v23, v23, 2, 0
	v_pack_b32_f16 v24, v57, v75
	v_pack_b32_f16 v25, v76, v28
	ds_write2_b32 v23, v24, v25 offset1:4
	v_pack_b32_f16 v24, v36, v27
	ds_write_b32 v23, v24 offset:32
	v_or_b32_e32 v23, v26, v20
	v_lshrrev_b32_e32 v26, 2, v10
	v_mul_lo_u32 v26, v26, 12
	v_lshl_add_u32 v23, v23, 2, 0
	v_pack_b32_f16 v24, v58, v59
	v_pack_b32_f16 v25, v60, v30
	ds_write2_b32 v23, v24, v25 offset1:4
	v_pack_b32_f16 v24, v37, v29
	ds_write_b32 v23, v24 offset:32
	v_or_b32_e32 v23, v26, v20
	v_lshrrev_b32_e32 v26, 2, v12
	v_mul_lo_u32 v26, v26, 12
	;; [unrolled: 9-line block ×3, first 2 shown]
	v_lshl_add_u32 v23, v23, 2, 0
	v_pack_b32_f16 v24, v32, v65
	v_pack_b32_f16 v25, v77, v66
	ds_write2_b32 v23, v24, v25 offset1:4
	v_pack_b32_f16 v24, v39, v33
	v_or_b32_e32 v20, v26, v20
	ds_write_b32 v23, v24 offset:32
	v_lshl_add_u32 v20, v20, 2, 0
	v_pack_b32_f16 v23, v34, v67
	v_pack_b32_f16 v24, v68, v35
	;; [unrolled: 1-line block ×3, first 2 shown]
	s_movk_i32 s2, 0xab
	ds_write2_b32 v20, v23, v24 offset1:4
	ds_write_b32 v20, v22 offset:32
	v_mul_lo_u16_sdwa v20, v0, s2 dst_sel:DWORD dst_unused:UNUSED_PAD src0_sel:BYTE_0 src1_sel:DWORD
	v_lshrrev_b16_e32 v34, 11, v20
	v_mul_lo_u16_e32 v20, 12, v34
	v_sub_u16_e32 v35, v0, v20
	v_mov_b32_e32 v20, 6
	v_mul_u32_u24_sdwa v22, v35, v20 dst_sel:DWORD dst_unused:UNUSED_PAD src0_sel:BYTE_0 src1_sel:DWORD
	v_lshlrev_b32_e32 v52, 2, v22
	s_waitcnt lgkmcnt(0)
	; wave barrier
	s_waitcnt lgkmcnt(0)
	global_load_dwordx4 v[22:25], v52, s[8:9] offset:40
	global_load_dwordx2 v[57:58], v52, s[8:9] offset:56
	v_mul_lo_u16_sdwa v26, v19, s2 dst_sel:DWORD dst_unused:UNUSED_PAD src0_sel:BYTE_0 src1_sel:DWORD
	v_lshrrev_b16_e32 v30, 11, v26
	v_mul_lo_u16_e32 v26, 12, v30
	v_sub_u16_e32 v31, v19, v26
	v_mul_u32_u24_sdwa v26, v31, v20 dst_sel:DWORD dst_unused:UNUSED_PAD src0_sel:BYTE_0 src1_sel:DWORD
	v_lshlrev_b32_e32 v71, 2, v26
	global_load_dwordx4 v[26:29], v71, s[8:9] offset:40
	v_mul_lo_u16_sdwa v32, v2, s2 dst_sel:DWORD dst_unused:UNUSED_PAD src0_sel:BYTE_0 src1_sel:DWORD
	v_lshrrev_b16_e32 v32, 11, v32
	v_mul_lo_u16_e32 v33, 12, v32
	v_sub_u16_e32 v33, v2, v33
	v_mul_u32_u24_sdwa v20, v33, v20 dst_sel:DWORD dst_unused:UNUSED_PAD src0_sel:BYTE_0 src1_sel:DWORD
	v_lshlrev_b32_e32 v20, 2, v20
	global_load_dwordx4 v[36:39], v20, s[8:9] offset:40
	v_add_u32_e32 v50, v15, v17
	v_add_u32_e32 v52, 0x600, v40
	;; [unrolled: 1-line block ×3, first 2 shown]
	ds_read2_b32 v[53:54], v40 offset1:176
	ds_read2_b32 v[55:56], v11 offset0:148 offset1:192
	ds_read_b32 v15, v50
	ds_read2_b32 v[59:60], v52 offset0:100 offset1:144
	ds_read2_b32 v[61:62], v61 offset0:108 offset1:152
	ds_read_b32 v73, v49
	global_load_dwordx2 v[63:64], v20, s[8:9] offset:56
	v_add_u32_e32 v20, 0x200, v40
	ds_read2_b32 v[65:66], v20 offset0:92 offset1:180
	ds_read2_b32 v[67:68], v13 offset0:96 offset1:184
	ds_read_b32 v74, v44
	ds_read_b32 v75, v47
	ds_read2_b32 v[69:70], v11 offset0:60 offset1:104
	ds_read_b32 v20, v48
	global_load_dwordx2 v[71:72], v71, s[8:9] offset:56
	s_waitcnt lgkmcnt(5)
	v_lshrrev_b32_e32 v76, 16, v65
	s_waitcnt lgkmcnt(2)
	v_lshrrev_b32_e32 v78, 16, v75
	v_lshrrev_b32_e32 v77, 16, v67
	;; [unrolled: 1-line block ×3, first 2 shown]
	s_mov_b32 s3, 0xbcab
	s_movk_i32 s2, 0x370e
	v_mul_u32_u24_e32 v34, 0x150, v34
	v_mul_u32_u24_e32 v32, 0x150, v32
	;; [unrolled: 1-line block ×3, first 2 shown]
	s_waitcnt vmcnt(5)
	v_mul_f16_sdwa v79, v22, v78 dst_sel:DWORD dst_unused:UNUSED_PAD src0_sel:WORD_1 src1_sel:DWORD
	v_fma_f16 v79, v22, v75, -v79
	v_mul_f16_sdwa v75, v22, v75 dst_sel:DWORD dst_unused:UNUSED_PAD src0_sel:WORD_1 src1_sel:DWORD
	v_fma_f16 v75, v22, v78, v75
	v_lshrrev_b32_e32 v22, 16, v74
	v_mul_f16_sdwa v78, v23, v22 dst_sel:DWORD dst_unused:UNUSED_PAD src0_sel:WORD_1 src1_sel:DWORD
	v_fma_f16 v78, v23, v74, -v78
	v_mul_f16_sdwa v74, v23, v74 dst_sel:DWORD dst_unused:UNUSED_PAD src0_sel:WORD_1 src1_sel:DWORD
	v_fma_f16 v74, v23, v22, v74
	v_lshrrev_b32_e32 v22, 16, v15
	;; [unrolled: 5-line block ×3, first 2 shown]
	v_mul_f16_sdwa v23, v25, v60 dst_sel:DWORD dst_unused:UNUSED_PAD src0_sel:WORD_1 src1_sel:DWORD
	v_fma_f16 v24, v25, v22, v23
	v_mul_f16_sdwa v22, v25, v22 dst_sel:DWORD dst_unused:UNUSED_PAD src0_sel:WORD_1 src1_sel:DWORD
	v_fma_f16 v25, v25, v60, -v22
	s_waitcnt vmcnt(3)
	v_mul_f16_sdwa v60, v76, v26 dst_sel:DWORD dst_unused:UNUSED_PAD src0_sel:DWORD src1_sel:WORD_1
	v_lshrrev_b32_e32 v22, 16, v59
	v_fma_f16 v60, v65, v26, -v60
	v_mul_f16_sdwa v65, v65, v26 dst_sel:DWORD dst_unused:UNUSED_PAD src0_sel:DWORD src1_sel:WORD_1
	v_fma_f16 v26, v76, v26, v65
	v_mul_f16_sdwa v65, v22, v28 dst_sel:DWORD dst_unused:UNUSED_PAD src0_sel:DWORD src1_sel:WORD_1
	v_fma_f16 v81, v59, v28, -v65
	v_mul_f16_sdwa v59, v59, v28 dst_sel:DWORD dst_unused:UNUSED_PAD src0_sel:DWORD src1_sel:WORD_1
	s_waitcnt lgkmcnt(1)
	v_lshrrev_b32_e32 v23, 16, v70
	v_mul_f16_sdwa v65, v67, v27 dst_sel:DWORD dst_unused:UNUSED_PAD src0_sel:DWORD src1_sel:WORD_1
	v_fma_f16 v28, v22, v28, v59
	v_mul_f16_sdwa v22, v70, v29 dst_sel:DWORD dst_unused:UNUSED_PAD src0_sel:DWORD src1_sel:WORD_1
	v_fma_f16 v82, v77, v27, v65
	;; [unrolled: 2-line block ×3, first 2 shown]
	v_mul_f16_sdwa v22, v23, v29 dst_sel:DWORD dst_unused:UNUSED_PAD src0_sel:DWORD src1_sel:WORD_1
	v_lshrrev_b32_e32 v23, 16, v66
	v_fma_f16 v27, v67, v27, -v65
	s_waitcnt vmcnt(2)
	v_mul_f16_sdwa v67, v23, v37 dst_sel:DWORD dst_unused:UNUSED_PAD src0_sel:DWORD src1_sel:WORD_1
	v_fma_f16 v29, v70, v29, -v22
	v_fma_f16 v70, v66, v37, -v67
	v_mul_f16_sdwa v66, v66, v37 dst_sel:DWORD dst_unused:UNUSED_PAD src0_sel:DWORD src1_sel:WORD_1
	v_lshrrev_b32_e32 v67, 16, v68
	v_fma_f16 v83, v23, v37, v66
	v_mul_f16_sdwa v23, v67, v38 dst_sel:DWORD dst_unused:UNUSED_PAD src0_sel:DWORD src1_sel:WORD_1
	v_fma_f16 v84, v68, v38, -v23
	v_mul_f16_sdwa v23, v68, v38 dst_sel:DWORD dst_unused:UNUSED_PAD src0_sel:DWORD src1_sel:WORD_1
	v_lshrrev_b32_e32 v37, 16, v69
	v_fma_f16 v68, v67, v38, v23
	v_mul_f16_sdwa v23, v37, v39 dst_sel:DWORD dst_unused:UNUSED_PAD src0_sel:DWORD src1_sel:WORD_1
	;; [unrolled: 5-line block ×3, first 2 shown]
	v_fma_f16 v86, v22, v36, v23
	v_mul_f16_sdwa v22, v22, v36 dst_sel:DWORD dst_unused:UNUSED_PAD src0_sel:DWORD src1_sel:WORD_1
	v_fma_f16 v54, v54, v36, -v22
	ds_read2_b32 v[22:23], v51 offset0:68 offset1:112
	v_lshrrev_b32_e32 v38, 16, v56
	v_mul_f16_sdwa v36, v17, v57 dst_sel:DWORD dst_unused:UNUSED_PAD src0_sel:DWORD src1_sel:WORD_1
	v_mul_f16_sdwa v37, v55, v57 dst_sel:DWORD dst_unused:UNUSED_PAD src0_sel:DWORD src1_sel:WORD_1
	v_lshrrev_b32_e32 v65, 16, v62
	v_fma_f16 v36, v55, v57, -v36
	v_fma_f16 v17, v17, v57, v37
	s_waitcnt vmcnt(1)
	v_mul_f16_sdwa v57, v38, v63 dst_sel:DWORD dst_unused:UNUSED_PAD src0_sel:DWORD src1_sel:WORD_1
	v_mul_f16_sdwa v37, v62, v58 dst_sel:DWORD dst_unused:UNUSED_PAD src0_sel:DWORD src1_sel:WORD_1
	;; [unrolled: 1-line block ×3, first 2 shown]
	v_fma_f16 v57, v56, v63, -v57
	v_mul_f16_sdwa v56, v56, v63 dst_sel:DWORD dst_unused:UNUSED_PAD src0_sel:DWORD src1_sel:WORD_1
	v_fma_f16 v37, v65, v58, v37
	v_fma_f16 v39, v62, v58, -v39
	s_waitcnt lgkmcnt(0)
	v_lshrrev_b32_e32 v55, 16, v22
	v_lshrrev_b32_e32 v58, 16, v61
	v_fma_f16 v56, v38, v63, v56
	v_mul_f16_sdwa v38, v22, v64 dst_sel:DWORD dst_unused:UNUSED_PAD src0_sel:DWORD src1_sel:WORD_1
	v_fma_f16 v87, v55, v64, v38
	v_mul_f16_sdwa v38, v55, v64 dst_sel:DWORD dst_unused:UNUSED_PAD src0_sel:DWORD src1_sel:WORD_1
	s_waitcnt vmcnt(0)
	v_mul_f16_sdwa v55, v58, v71 dst_sel:DWORD dst_unused:UNUSED_PAD src0_sel:DWORD src1_sel:WORD_1
	v_fma_f16 v22, v22, v64, -v38
	v_lshrrev_b32_e32 v38, 16, v23
	v_fma_f16 v55, v61, v71, -v55
	v_mul_f16_sdwa v61, v61, v71 dst_sel:DWORD dst_unused:UNUSED_PAD src0_sel:DWORD src1_sel:WORD_1
	v_fma_f16 v58, v58, v71, v61
	v_mul_f16_sdwa v61, v38, v72 dst_sel:DWORD dst_unused:UNUSED_PAD src0_sel:DWORD src1_sel:WORD_1
	v_fma_f16 v61, v23, v72, -v61
	v_mul_f16_sdwa v23, v23, v72 dst_sel:DWORD dst_unused:UNUSED_PAD src0_sel:DWORD src1_sel:WORD_1
	v_fma_f16 v88, v38, v72, v23
	v_add_f16_e32 v23, v79, v39
	v_add_f16_e32 v62, v78, v36
	;; [unrolled: 1-line block ×4, first 2 shown]
	v_sub_f16_e32 v36, v78, v36
	v_sub_f16_e32 v17, v74, v17
	v_add_f16_e32 v64, v80, v25
	v_add_f16_e32 v65, v15, v24
	v_sub_f16_e32 v25, v25, v80
	v_sub_f16_e32 v15, v24, v15
	v_add_f16_e32 v24, v62, v23
	v_sub_f16_e32 v39, v79, v39
	v_sub_f16_e32 v37, v75, v37
	;; [unrolled: 3-line block ×3, first 2 shown]
	v_sub_f16_e32 v23, v23, v64
	v_sub_f16_e32 v38, v38, v65
	;; [unrolled: 1-line block ×4, first 2 shown]
	v_add_f16_e32 v72, v25, v36
	v_add_f16_e32 v24, v64, v24
	;; [unrolled: 1-line block ×4, first 2 shown]
	v_sub_f16_e32 v66, v25, v36
	v_sub_f16_e32 v25, v39, v25
	;; [unrolled: 1-line block ×3, first 2 shown]
	v_add_f16_e32 v39, v72, v39
	v_sub_f16_e32 v72, v15, v17
	v_sub_f16_e32 v15, v37, v15
	;; [unrolled: 1-line block ×3, first 2 shown]
	v_add_f16_e32 v37, v64, v37
	v_mul_f16_e32 v38, 0x3a52, v38
	v_mul_f16_e32 v64, 0x2b26, v63
	v_add_f16_e32 v76, v24, v53
	v_add_f16_sdwa v77, v65, v53 dst_sel:DWORD dst_unused:UNUSED_PAD src0_sel:DWORD src1_sel:WORD_1
	v_mul_f16_e32 v23, 0x3a52, v23
	v_mul_f16_e32 v53, 0x2b26, v62
	v_mul_f16_e32 v66, 0xb846, v66
	v_fma_f16 v63, v63, s7, v38
	v_fma_f16 v64, v71, s10, -v64
	v_fma_f16 v38, v71, s11, -v38
	v_mul_f16_e32 v71, 0x3b00, v36
	v_fma_f16 v62, v62, s7, v23
	v_fma_f16 v53, v67, s10, -v53
	v_fma_f16 v23, v67, s11, -v23
	v_mul_f16_e32 v67, 0xb846, v72
	v_fma_f16 v36, v36, s4, -v66
	v_fma_f16 v66, v25, s5, v66
	v_fma_f16 v25, v25, s6, -v71
	v_mul_f16_e32 v71, 0x3b00, v17
	v_fma_f16 v24, v24, s3, v76
	v_fma_f16 v65, v65, s3, v77
	v_fma_f16 v17, v17, s4, -v67
	v_fma_f16 v67, v15, s5, v67
	v_fma_f16 v15, v15, s6, -v71
	v_add_f16_e32 v71, v62, v24
	v_add_f16_e32 v72, v63, v65
	;; [unrolled: 1-line block ×6, first 2 shown]
	v_fma_f16 v63, v39, s2, v36
	v_fma_f16 v25, v39, s2, v25
	v_fma_f16 v15, v37, s2, v15
	v_fma_f16 v74, v39, s2, v66
	v_fma_f16 v17, v37, s2, v17
	v_add_f16_e32 v36, v15, v23
	v_sub_f16_e32 v38, v24, v25
	v_add_f16_e32 v65, v63, v62
	v_sub_f16_e32 v62, v62, v63
	v_sub_f16_e32 v63, v23, v15
	v_add_f16_e32 v66, v25, v24
	v_add_f16_e32 v15, v54, v22
	;; [unrolled: 1-line block ×3, first 2 shown]
	v_fma_f16 v64, v37, s2, v67
	v_sub_f16_e32 v39, v53, v17
	v_add_f16_e32 v37, v17, v53
	v_add_f16_e32 v17, v86, v87
	v_sub_f16_e32 v22, v54, v22
	v_add_f16_e32 v25, v83, v56
	v_sub_f16_e32 v53, v70, v57
	v_sub_f16_e32 v54, v83, v56
	v_add_f16_e32 v56, v84, v85
	v_add_f16_e32 v57, v68, v69
	v_sub_f16_e32 v70, v85, v84
	v_sub_f16_e32 v68, v69, v68
	v_add_f16_e32 v69, v24, v15
	;; [unrolled: 4-line block ×3, first 2 shown]
	v_sub_f16_e32 v23, v86, v87
	v_add_f16_e32 v71, v25, v17
	v_sub_f16_e32 v72, v24, v15
	v_sub_f16_e32 v15, v15, v56
	;; [unrolled: 1-line block ×3, first 2 shown]
	v_add_f16_e32 v75, v70, v53
	v_add_f16_e32 v56, v56, v69
	;; [unrolled: 1-line block ×3, first 2 shown]
	v_sub_f16_e32 v74, v25, v17
	v_sub_f16_e32 v17, v17, v57
	v_sub_f16_e32 v25, v57, v25
	v_add_f16_e32 v57, v57, v71
	v_sub_f16_e32 v71, v70, v53
	v_sub_f16_e32 v70, v22, v70
	v_sub_f16_e32 v53, v53, v22
	v_add_f16_e32 v22, v75, v22
	;; [unrolled: 4-line block ×3, first 2 shown]
	v_mul_f16_e32 v69, 0x2b26, v24
	v_mul_f16_e32 v15, 0x3a52, v15
	v_fma_f16 v80, v72, s10, -v69
	v_mul_f16_e32 v69, 0x2b26, v25
	v_fma_f16 v24, v24, s7, v15
	v_fma_f16 v15, v72, s11, -v15
	v_mul_f16_e32 v71, 0xb846, v71
	v_mul_f16_e32 v72, 0xb846, v75
	v_fma_f16 v75, v74, s10, -v69
	v_mul_f16_e32 v69, 0x3b00, v53
	v_mul_f16_e32 v17, 0x3a52, v17
	v_fma_f16 v53, v53, s4, -v71
	v_fma_f16 v71, v70, s5, v71
	v_fma_f16 v70, v70, s6, -v69
	v_mul_f16_e32 v69, 0x3b00, v54
	v_fma_f16 v25, v25, s7, v17
	v_fma_f16 v17, v74, s11, -v17
	v_fma_f16 v54, v54, s4, -v72
	v_fma_f16 v72, v68, s5, v72
	v_fma_f16 v74, v68, s6, -v69
	v_add_f16_e32 v68, v56, v73
	v_add_f16_sdwa v69, v57, v73 dst_sel:DWORD dst_unused:UNUSED_PAD src0_sel:DWORD src1_sel:WORD_1
	v_fma_f16 v56, v56, s3, v68
	v_fma_f16 v57, v57, s3, v69
	v_add_f16_e32 v24, v24, v56
	v_add_f16_e32 v25, v25, v57
	;; [unrolled: 1-line block ×4, first 2 shown]
	v_fma_f16 v84, v23, s2, v72
	v_fma_f16 v17, v22, s2, v53
	;; [unrolled: 1-line block ×3, first 2 shown]
	v_add_f16_e32 v80, v80, v56
	v_add_f16_e32 v56, v15, v56
	v_fma_f16 v83, v22, s2, v71
	v_fma_f16 v15, v23, s2, v54
	;; [unrolled: 1-line block ×3, first 2 shown]
	v_add_f16_e32 v70, v84, v24
	v_add_f16_e32 v74, v17, v75
	v_sub_f16_e32 v17, v75, v17
	v_sub_f16_e32 v75, v57, v53
	v_add_f16_e32 v54, v53, v57
	v_sub_f16_e32 v23, v24, v84
	v_add_f16_e32 v24, v60, v61
	v_add_f16_e32 v57, v27, v55
	v_sub_f16_e32 v73, v25, v83
	v_add_f16_e32 v71, v22, v56
	v_sub_f16_e32 v22, v56, v22
	v_add_f16_e32 v53, v83, v25
	v_add_f16_e32 v25, v26, v88
	v_sub_f16_e32 v56, v60, v61
	v_add_f16_e32 v60, v82, v58
	v_sub_f16_e32 v27, v27, v55
	v_sub_f16_e32 v55, v82, v58
	v_add_f16_e32 v58, v81, v29
	v_add_f16_e32 v61, v28, v59
	v_sub_f16_e32 v29, v29, v81
	v_sub_f16_e32 v28, v59, v28
	v_add_f16_e32 v59, v57, v24
	v_sub_f16_e32 v72, v80, v15
	v_add_f16_e32 v15, v15, v80
	v_add_f16_e32 v80, v60, v25
	v_sub_f16_e32 v81, v57, v24
	v_sub_f16_e32 v24, v24, v58
	v_sub_f16_e32 v57, v58, v57
	v_add_f16_e32 v58, v58, v59
	v_add_f16_e32 v59, v29, v27
	v_sub_f16_e32 v26, v26, v88
	v_sub_f16_e32 v82, v60, v25
	;; [unrolled: 1-line block ×4, first 2 shown]
	v_add_f16_e32 v61, v61, v80
	v_sub_f16_e32 v80, v29, v27
	v_sub_f16_e32 v29, v56, v29
	;; [unrolled: 1-line block ×3, first 2 shown]
	v_add_f16_e32 v56, v59, v56
	v_add_f16_e32 v59, v28, v55
	v_sub_f16_e32 v83, v28, v55
	v_sub_f16_e32 v28, v26, v28
	;; [unrolled: 1-line block ×3, first 2 shown]
	v_add_f16_e32 v26, v59, v26
	v_mul_f16_e32 v24, 0x3a52, v24
	v_mul_f16_e32 v59, 0x2b26, v57
	v_fma_f16 v57, v57, s7, v24
	v_fma_f16 v59, v81, s10, -v59
	v_fma_f16 v81, v81, s11, -v24
	v_mul_f16_e32 v24, 0x3a52, v25
	v_mul_f16_e32 v25, 0x2b26, v60
	v_fma_f16 v60, v60, s7, v24
	v_fma_f16 v25, v82, s10, -v25
	v_fma_f16 v82, v82, s11, -v24
	v_mul_f16_e32 v24, 0xb846, v80
	v_mul_f16_e32 v80, 0x3b00, v27
	v_fma_f16 v27, v27, s4, -v24
	v_fma_f16 v84, v29, s5, v24
	v_mul_f16_e32 v24, 0xb846, v83
	v_fma_f16 v83, v55, s4, -v24
	v_fma_f16 v85, v28, s5, v24
	v_add_f16_e32 v24, v58, v20
	v_fma_f16 v29, v29, s6, -v80
	v_mul_f16_e32 v80, 0x3b00, v55
	v_fma_f16 v55, v58, s3, v24
	v_fma_f16 v28, v28, s6, -v80
	v_add_f16_e32 v80, v57, v55
	v_add_f16_e32 v57, v59, v55
	;; [unrolled: 1-line block ×3, first 2 shown]
	v_add_f16_sdwa v55, v61, v20 dst_sel:DWORD dst_unused:UNUSED_PAD src0_sel:DWORD src1_sel:WORD_1
	v_fma_f16 v20, v61, s3, v55
	v_add_f16_e32 v61, v60, v20
	v_add_f16_e32 v59, v25, v20
	;; [unrolled: 1-line block ×3, first 2 shown]
	v_fma_f16 v81, v56, s2, v84
	v_fma_f16 v82, v26, s2, v85
	;; [unrolled: 1-line block ×6, first 2 shown]
	v_add_f16_e32 v25, v82, v80
	v_add_f16_e32 v26, v29, v58
	v_sub_f16_e32 v27, v57, v83
	v_add_f16_e32 v28, v83, v57
	v_sub_f16_e32 v29, v58, v29
	;; [unrolled: 2-line block ×3, first 2 shown]
	v_sub_f16_e32 v57, v20, v84
	v_add_f16_e32 v60, v84, v20
	v_sub_f16_e32 v20, v80, v82
	v_mov_b32_e32 v80, 2
	v_lshlrev_b32_sdwa v35, v80, v35 dst_sel:DWORD dst_unused:UNUSED_PAD src0_sel:DWORD src1_sel:BYTE_0
	v_add3_u32 v34, 0, v34, v35
	v_pack_b32_f16 v35, v76, v77
	v_pack_b32_f16 v76, v78, v79
	s_waitcnt lgkmcnt(0)
	; wave barrier
	ds_write2_b32 v34, v35, v76 offset1:12
	v_pack_b32_f16 v35, v36, v38
	v_pack_b32_f16 v36, v39, v65
	ds_write2_b32 v34, v35, v36 offset0:24 offset1:36
	v_pack_b32_f16 v35, v37, v62
	v_pack_b32_f16 v36, v63, v66
	ds_write2_b32 v34, v35, v36 offset0:48 offset1:60
	v_pack_b32_f16 v35, v64, v67
	v_lshlrev_b32_sdwa v33, v80, v33 dst_sel:DWORD dst_unused:UNUSED_PAD src0_sel:DWORD src1_sel:BYTE_0
	ds_write_b32 v34, v35 offset:288
	v_add3_u32 v32, 0, v32, v33
	v_pack_b32_f16 v33, v68, v69
	v_pack_b32_f16 v34, v70, v73
	ds_write2_b32 v32, v33, v34 offset1:12
	v_pack_b32_f16 v33, v71, v75
	v_pack_b32_f16 v34, v72, v74
	ds_write2_b32 v32, v33, v34 offset0:24 offset1:36
	v_pack_b32_f16 v33, v15, v17
	v_pack_b32_f16 v34, v22, v54
	v_sub_f16_e32 v56, v61, v81
	ds_write2_b32 v32, v33, v34 offset0:48 offset1:60
	v_pack_b32_f16 v33, v23, v53
	v_lshlrev_b32_sdwa v31, v80, v31 dst_sel:DWORD dst_unused:UNUSED_PAD src0_sel:DWORD src1_sel:BYTE_0
	ds_write_b32 v32, v33 offset:288
	v_add3_u32 v30, 0, v30, v31
	v_pack_b32_f16 v31, v24, v55
	v_pack_b32_f16 v32, v25, v56
	ds_write2_b32 v30, v31, v32 offset1:12
	v_pack_b32_f16 v31, v26, v57
	v_pack_b32_f16 v32, v27, v58
	v_add_f16_e32 v61, v81, v61
	ds_write2_b32 v30, v31, v32 offset0:24 offset1:36
	v_pack_b32_f16 v31, v28, v59
	v_pack_b32_f16 v32, v29, v60
	ds_write2_b32 v30, v31, v32 offset0:48 offset1:60
	v_pack_b32_f16 v31, v20, v61
	ds_write_b32 v30, v31 offset:288
	s_waitcnt lgkmcnt(0)
	; wave barrier
	s_waitcnt lgkmcnt(0)
	ds_read2_b32 v[30:31], v40 offset1:84
	ds_read2_b32 v[38:39], v40 offset0:168 offset1:252
	ds_read2_b32 v[36:37], v13 offset0:80 offset1:164
	ds_read2_b32 v[34:35], v52 offset0:120 offset1:204
	ds_read2_b32 v[32:33], v11 offset0:160 offset1:244
	ds_read_b32 v62, v40 offset:3360
	v_cmp_gt_u32_e64 s[2:3], 40, v0
	s_and_saveexec_b64 s[4:5], s[2:3]
	s_cbranch_execz .LBB0_21
; %bb.20:
	ds_read_b32 v15, v49
	ds_read2_b32 v[22:23], v40 offset0:128 offset1:212
	ds_read2_b32 v[24:25], v13 offset0:40 offset1:124
	;; [unrolled: 1-line block ×5, first 2 shown]
	s_waitcnt lgkmcnt(5)
	v_lshrrev_b32_e32 v17, 16, v15
	s_waitcnt lgkmcnt(4)
	v_lshrrev_b32_e32 v54, 16, v22
	v_lshrrev_b32_e32 v53, 16, v23
	s_waitcnt lgkmcnt(3)
	v_lshrrev_b32_e32 v55, 16, v24
	;; [unrolled: 3-line block ×5, first 2 shown]
	v_lshrrev_b32_e32 v9, 16, v21
.LBB0_21:
	s_or_b64 exec, exec, s[4:5]
	v_mul_u32_u24_e32 v51, 10, v0
	v_lshlrev_b32_e32 v51, 2, v51
	global_load_dwordx4 v[63:66], v51, s[8:9] offset:328
	global_load_dwordx4 v[67:70], v51, s[8:9] offset:344
	global_load_dwordx2 v[71:72], v51, s[8:9] offset:360
	s_waitcnt lgkmcnt(5)
	v_lshrrev_b32_e32 v81, 16, v31
	s_waitcnt lgkmcnt(1)
	v_lshrrev_b32_e32 v51, 16, v33
	v_lshrrev_b32_e32 v80, 16, v38
	s_waitcnt lgkmcnt(0)
	v_lshrrev_b32_e32 v73, 16, v62
	v_lshrrev_b32_e32 v79, 16, v39
	;; [unrolled: 1-line block ×7, first 2 shown]
	s_movk_i32 s6, 0x3abb
	s_movk_i32 s10, 0x36a6
	s_mov_b32 s14, 0xb08e
	s_mov_b32 s16, 0xb93d
	;; [unrolled: 1-line block ×3, first 2 shown]
	s_waitcnt lgkmcnt(0)
	; wave barrier
	s_mov_b32 s7, 0xb853
	s_mov_b32 s11, 0xbb47
	;; [unrolled: 1-line block ×5, first 2 shown]
	s_movk_i32 s20, 0x3482
	s_movk_i32 s21, 0x3beb
	;; [unrolled: 1-line block ×4, first 2 shown]
	s_waitcnt vmcnt(2)
	v_mul_f16_sdwa v82, v63, v81 dst_sel:DWORD dst_unused:UNUSED_PAD src0_sel:WORD_1 src1_sel:DWORD
	v_mul_f16_sdwa v83, v63, v31 dst_sel:DWORD dst_unused:UNUSED_PAD src0_sel:WORD_1 src1_sel:DWORD
	;; [unrolled: 1-line block ×4, first 2 shown]
	s_waitcnt vmcnt(0)
	v_mul_f16_sdwa v98, v51, v71 dst_sel:DWORD dst_unused:UNUSED_PAD src0_sel:DWORD src1_sel:WORD_1
	v_mul_f16_sdwa v99, v33, v71 dst_sel:DWORD dst_unused:UNUSED_PAD src0_sel:DWORD src1_sel:WORD_1
	;; [unrolled: 1-line block ×3, first 2 shown]
	v_fma_f16 v31, v63, v31, -v82
	v_fma_f16 v63, v63, v81, v83
	v_mul_f16_sdwa v86, v65, v79 dst_sel:DWORD dst_unused:UNUSED_PAD src0_sel:WORD_1 src1_sel:DWORD
	v_mul_f16_sdwa v87, v65, v39 dst_sel:DWORD dst_unused:UNUSED_PAD src0_sel:WORD_1 src1_sel:DWORD
	v_mul_f16_sdwa v100, v73, v72 dst_sel:DWORD dst_unused:UNUSED_PAD src0_sel:DWORD src1_sel:WORD_1
	v_fma_f16 v38, v64, v38, -v84
	v_fma_f16 v64, v64, v80, v85
	v_fma_f16 v33, v33, v71, -v98
	v_fma_f16 v51, v51, v71, v99
	v_fma_f16 v71, v73, v72, v101
	v_add_f16_sdwa v73, v63, v30 dst_sel:DWORD dst_unused:UNUSED_PAD src0_sel:DWORD src1_sel:WORD_1
	v_mul_f16_sdwa v88, v66, v78 dst_sel:DWORD dst_unused:UNUSED_PAD src0_sel:WORD_1 src1_sel:DWORD
	v_mul_f16_sdwa v89, v66, v36 dst_sel:DWORD dst_unused:UNUSED_PAD src0_sel:WORD_1 src1_sel:DWORD
	v_fma_f16 v39, v65, v39, -v86
	v_fma_f16 v65, v65, v79, v87
	v_fma_f16 v62, v62, v72, -v100
	v_add_f16_e32 v72, v31, v30
	v_add_f16_e32 v73, v73, v64
	v_mul_f16_sdwa v90, v67, v77 dst_sel:DWORD dst_unused:UNUSED_PAD src0_sel:WORD_1 src1_sel:DWORD
	v_mul_f16_sdwa v91, v67, v37 dst_sel:DWORD dst_unused:UNUSED_PAD src0_sel:WORD_1 src1_sel:DWORD
	v_fma_f16 v36, v66, v36, -v88
	v_fma_f16 v66, v66, v78, v89
	v_add_f16_e32 v72, v72, v38
	v_add_f16_e32 v73, v73, v65
	v_mul_f16_sdwa v92, v68, v76 dst_sel:DWORD dst_unused:UNUSED_PAD src0_sel:WORD_1 src1_sel:DWORD
	v_mul_f16_sdwa v93, v68, v34 dst_sel:DWORD dst_unused:UNUSED_PAD src0_sel:WORD_1 src1_sel:DWORD
	v_fma_f16 v37, v67, v37, -v90
	v_fma_f16 v67, v67, v77, v91
	;; [unrolled: 6-line block ×4, first 2 shown]
	v_add_f16_e32 v72, v72, v37
	v_add_f16_e32 v73, v73, v68
	v_fma_f16 v32, v70, v32, -v96
	v_fma_f16 v70, v70, v74, v97
	v_add_f16_e32 v72, v72, v34
	v_add_f16_e32 v73, v73, v69
	;; [unrolled: 1-line block ×6, first 2 shown]
	v_sub_f16_e32 v31, v31, v62
	v_sub_f16_e32 v63, v63, v71
	v_add_f16_e32 v72, v72, v32
	v_add_f16_e32 v73, v73, v51
	v_mul_f16_e32 v76, 0xb853, v63
	v_mul_f16_e32 v77, 0xb853, v31
	;; [unrolled: 1-line block ×3, first 2 shown]
	v_add_f16_e32 v72, v72, v33
	v_add_f16_e32 v71, v73, v71
	v_mul_f16_e32 v73, 0xbb47, v31
	v_mul_f16_e32 v82, 0xbbeb, v63
	v_mul_f16_e32 v84, 0xbbeb, v31
	v_mul_f16_e32 v86, 0xba0c, v63
	v_mul_f16_e32 v88, 0xba0c, v31
	v_mul_f16_e32 v63, 0xb482, v63
	v_mul_f16_e32 v31, 0xb482, v31
	v_fma_f16 v79, v74, s6, -v76
	v_fma_f16 v80, v75, s6, v77
	v_fma_f16 v76, v74, s6, v76
	v_fma_f16 v77, v75, s6, -v77
	v_add_f16_e32 v62, v72, v62
	v_fma_f16 v72, v74, s10, -v78
	v_fma_f16 v81, v75, s10, v73
	v_fma_f16 v78, v74, s10, v78
	v_fma_f16 v73, v75, s10, -v73
	v_fma_f16 v83, v74, s14, -v82
	v_fma_f16 v85, v75, s14, v84
	v_fma_f16 v82, v74, s14, v82
	v_fma_f16 v84, v75, s14, -v84
	;; [unrolled: 4-line block ×4, first 2 shown]
	v_add_f16_e32 v79, v79, v30
	v_add_f16_sdwa v80, v80, v30 dst_sel:DWORD dst_unused:UNUSED_PAD src0_sel:DWORD src1_sel:WORD_1
	v_add_f16_e32 v76, v76, v30
	v_add_f16_sdwa v77, v77, v30 dst_sel:DWORD dst_unused:UNUSED_PAD src0_sel:DWORD src1_sel:WORD_1
	v_add_f16_e32 v72, v72, v30
	v_add_f16_sdwa v81, v81, v30 dst_sel:DWORD dst_unused:UNUSED_PAD src0_sel:DWORD src1_sel:WORD_1
	v_add_f16_e32 v78, v78, v30
	v_add_f16_sdwa v73, v73, v30 dst_sel:DWORD dst_unused:UNUSED_PAD src0_sel:DWORD src1_sel:WORD_1
	v_add_f16_e32 v83, v83, v30
	v_add_f16_sdwa v85, v85, v30 dst_sel:DWORD dst_unused:UNUSED_PAD src0_sel:DWORD src1_sel:WORD_1
	v_add_f16_e32 v82, v82, v30
	v_add_f16_sdwa v84, v84, v30 dst_sel:DWORD dst_unused:UNUSED_PAD src0_sel:DWORD src1_sel:WORD_1
	v_add_f16_e32 v87, v87, v30
	v_add_f16_sdwa v89, v89, v30 dst_sel:DWORD dst_unused:UNUSED_PAD src0_sel:DWORD src1_sel:WORD_1
	v_add_f16_e32 v86, v86, v30
	v_add_f16_sdwa v88, v88, v30 dst_sel:DWORD dst_unused:UNUSED_PAD src0_sel:DWORD src1_sel:WORD_1
	v_add_f16_e32 v90, v90, v30
	v_add_f16_sdwa v91, v91, v30 dst_sel:DWORD dst_unused:UNUSED_PAD src0_sel:DWORD src1_sel:WORD_1
	v_add_f16_e32 v63, v63, v30
	v_add_f16_sdwa v30, v31, v30 dst_sel:DWORD dst_unused:UNUSED_PAD src0_sel:DWORD src1_sel:WORD_1
	v_add_f16_e32 v31, v38, v33
	v_sub_f16_e32 v33, v38, v33
	v_sub_f16_e32 v38, v64, v51
	v_add_f16_e32 v74, v64, v51
	v_mul_f16_e32 v51, 0xbb47, v38
	v_fma_f16 v64, v31, s10, -v51
	v_mul_f16_e32 v75, 0xbb47, v33
	v_fma_f16 v51, v31, s10, v51
	v_add_f16_e32 v64, v64, v79
	v_fma_f16 v79, v74, s10, v75
	v_add_f16_e32 v51, v51, v76
	v_fma_f16 v75, v74, s10, -v75
	v_mul_f16_e32 v76, 0xba0c, v38
	v_add_f16_e32 v75, v75, v77
	v_fma_f16 v77, v31, s16, -v76
	v_add_f16_e32 v72, v77, v72
	v_mul_f16_e32 v77, 0xba0c, v33
	v_add_f16_e32 v79, v79, v80
	v_fma_f16 v80, v74, s16, v77
	v_fma_f16 v77, v74, s16, -v77
	v_fma_f16 v76, v31, s16, v76
	v_add_f16_e32 v73, v77, v73
	v_mul_f16_e32 v77, 0x3482, v38
	v_add_f16_e32 v80, v80, v81
	v_add_f16_e32 v76, v76, v78
	v_fma_f16 v78, v31, s18, -v77
	v_mul_f16_e32 v81, 0x3482, v33
	v_fma_f16 v77, v31, s18, v77
	v_add_f16_e32 v78, v78, v83
	v_fma_f16 v83, v74, s18, v81
	v_add_f16_e32 v77, v77, v82
	v_fma_f16 v81, v74, s18, -v81
	v_mul_f16_e32 v82, 0x3beb, v38
	v_add_f16_e32 v83, v83, v85
	v_add_f16_e32 v81, v81, v84
	v_fma_f16 v84, v31, s14, -v82
	v_mul_f16_e32 v85, 0x3beb, v33
	v_add_f16_e32 v84, v84, v87
	v_fma_f16 v87, v74, s14, v85
	v_fma_f16 v85, v74, s14, -v85
	v_mul_f16_e32 v33, 0x3853, v33
	v_fma_f16 v82, v31, s14, v82
	v_add_f16_e32 v85, v85, v88
	v_mul_f16_e32 v38, 0x3853, v38
	v_fma_f16 v88, v74, s6, v33
	v_fma_f16 v33, v74, s6, -v33
	v_add_f16_e32 v82, v82, v86
	v_fma_f16 v86, v31, s6, -v38
	v_fma_f16 v31, v31, s6, v38
	v_add_f16_e32 v30, v33, v30
	v_add_f16_e32 v33, v39, v32
	v_sub_f16_e32 v32, v39, v32
	v_sub_f16_e32 v39, v65, v70
	v_add_f16_e32 v31, v31, v63
	v_mul_f16_e32 v63, 0xbbeb, v39
	v_add_f16_e32 v38, v65, v70
	v_fma_f16 v65, v33, s14, -v63
	v_add_f16_e32 v64, v65, v64
	v_mul_f16_e32 v65, 0xbbeb, v32
	v_fma_f16 v63, v33, s14, v63
	v_fma_f16 v70, v38, s14, v65
	v_add_f16_e32 v51, v63, v51
	v_fma_f16 v63, v38, s14, -v65
	v_mul_f16_e32 v65, 0x3482, v39
	v_fma_f16 v74, v33, s18, -v65
	v_add_f16_e32 v72, v74, v72
	v_mul_f16_e32 v74, 0x3482, v32
	v_add_f16_e32 v63, v63, v75
	v_fma_f16 v75, v38, s18, v74
	v_fma_f16 v74, v38, s18, -v74
	v_fma_f16 v65, v33, s18, v65
	v_add_f16_e32 v73, v74, v73
	v_mul_f16_e32 v74, 0x3b47, v39
	v_add_f16_e32 v65, v65, v76
	v_fma_f16 v76, v33, s10, -v74
	v_add_f16_e32 v76, v76, v78
	v_mul_f16_e32 v78, 0x3b47, v32
	v_fma_f16 v74, v33, s10, v74
	v_add_f16_e32 v70, v70, v79
	v_fma_f16 v79, v38, s10, v78
	v_add_f16_e32 v74, v74, v77
	v_fma_f16 v77, v38, s10, -v78
	v_mul_f16_e32 v78, 0xb853, v39
	v_add_f16_e32 v75, v75, v80
	v_add_f16_e32 v77, v77, v81
	v_fma_f16 v80, v33, s6, -v78
	v_mul_f16_e32 v81, 0xb853, v32
	v_mul_f16_e32 v32, 0xba0c, v32
	v_add_f16_e32 v80, v80, v84
	v_fma_f16 v84, v38, s16, v32
	v_fma_f16 v32, v38, s16, -v32
	v_add_f16_e32 v30, v32, v30
	v_add_f16_e32 v32, v36, v35
	v_sub_f16_e32 v35, v36, v35
	v_sub_f16_e32 v36, v66, v69
	v_add_f16_e32 v79, v79, v83
	v_fma_f16 v83, v38, s6, v81
	v_fma_f16 v78, v33, s6, v78
	v_fma_f16 v81, v38, s6, -v81
	v_mul_f16_e32 v39, 0xba0c, v39
	v_mul_f16_e32 v38, 0xba0c, v36
	v_add_f16_e32 v78, v78, v82
	v_fma_f16 v82, v33, s16, -v39
	v_fma_f16 v33, v33, s16, v39
	v_fma_f16 v39, v32, s16, -v38
	v_add_f16_e32 v31, v33, v31
	v_add_f16_e32 v33, v66, v69
	;; [unrolled: 1-line block ×3, first 2 shown]
	v_mul_f16_e32 v64, 0xba0c, v35
	v_fma_f16 v38, v32, s16, v38
	v_add_f16_e32 v38, v38, v51
	v_fma_f16 v51, v33, s16, -v64
	v_add_f16_e32 v51, v51, v63
	v_mul_f16_e32 v63, 0x3beb, v36
	v_fma_f16 v66, v33, s16, v64
	v_fma_f16 v64, v32, s14, -v63
	v_mul_f16_e32 v69, 0x3beb, v35
	v_fma_f16 v63, v32, s14, v63
	v_add_f16_e32 v66, v66, v70
	v_fma_f16 v70, v33, s14, v69
	v_add_f16_e32 v63, v63, v65
	v_fma_f16 v65, v33, s14, -v69
	v_mul_f16_e32 v69, 0xb853, v36
	v_add_f16_e32 v64, v64, v72
	v_fma_f16 v72, v32, s6, -v69
	v_fma_f16 v69, v32, s6, v69
	v_add_f16_e32 v65, v65, v73
	v_mul_f16_e32 v73, 0xb853, v35
	v_add_f16_e32 v69, v69, v74
	v_mul_f16_e32 v74, 0xb482, v36
	v_add_f16_e32 v70, v70, v75
	v_add_f16_e32 v72, v72, v76
	v_fma_f16 v75, v33, s6, v73
	v_fma_f16 v73, v33, s6, -v73
	v_fma_f16 v76, v32, s18, -v74
	v_fma_f16 v74, v32, s18, v74
	v_mul_f16_e32 v36, 0x3b47, v36
	v_add_f16_e32 v73, v73, v77
	v_mul_f16_e32 v77, 0xb482, v35
	v_add_f16_e32 v74, v74, v78
	v_fma_f16 v78, v32, s10, -v36
	v_mul_f16_e32 v35, 0x3b47, v35
	v_fma_f16 v32, v32, s10, v36
	v_add_f16_e32 v76, v76, v80
	v_fma_f16 v80, v33, s10, v35
	v_add_f16_e32 v31, v32, v31
	v_fma_f16 v32, v33, s10, -v35
	v_sub_f16_e32 v35, v67, v68
	v_add_f16_e32 v30, v32, v30
	v_add_f16_e32 v32, v37, v34
	v_mul_f16_e32 v36, 0xb482, v35
	v_sub_f16_e32 v34, v37, v34
	v_fma_f16 v37, v32, s18, -v36
	v_add_f16_e32 v75, v75, v79
	v_fma_f16 v79, v33, s18, v77
	v_fma_f16 v77, v33, s18, -v77
	v_add_f16_e32 v33, v67, v68
	v_add_f16_e32 v37, v37, v39
	v_mul_f16_e32 v39, 0xb482, v34
	v_fma_f16 v36, v32, s18, v36
	v_fma_f16 v67, v33, s18, v39
	v_add_f16_e32 v36, v36, v38
	v_fma_f16 v38, v33, s18, -v39
	v_mul_f16_e32 v39, 0x3853, v35
	v_add_f16_e32 v38, v38, v51
	v_fma_f16 v51, v32, s6, -v39
	v_add_f16_e32 v51, v51, v64
	v_mul_f16_e32 v64, 0x3853, v34
	v_fma_f16 v39, v32, s6, v39
	v_add_f16_e32 v66, v67, v66
	v_fma_f16 v67, v33, s6, v64
	v_add_f16_e32 v39, v39, v63
	v_fma_f16 v63, v33, s6, -v64
	v_mul_f16_e32 v64, 0xba0c, v35
	v_add_f16_e32 v63, v63, v65
	v_fma_f16 v65, v32, s16, -v64
	v_fma_f16 v64, v32, s16, v64
	v_mul_f16_e32 v68, 0xba0c, v34
	v_add_f16_e32 v64, v64, v69
	v_mul_f16_e32 v69, 0x3b47, v35
	v_add_f16_e32 v67, v67, v70
	v_add_f16_e32 v65, v65, v72
	v_fma_f16 v70, v33, s16, v68
	v_fma_f16 v68, v33, s16, -v68
	v_fma_f16 v72, v32, s10, -v69
	v_fma_f16 v69, v32, s10, v69
	v_mul_f16_e32 v35, 0xbbeb, v35
	v_add_f16_e32 v87, v87, v89
	v_add_f16_e32 v86, v86, v90
	;; [unrolled: 1-line block ×4, first 2 shown]
	v_mul_f16_e32 v73, 0x3b47, v34
	v_add_f16_e32 v69, v69, v74
	v_fma_f16 v74, v32, s14, -v35
	v_mul_f16_e32 v34, 0xbbeb, v34
	v_fma_f16 v32, v32, s14, v35
	v_add_f16_e32 v83, v83, v87
	v_add_f16_e32 v82, v82, v86
	;; [unrolled: 1-line block ×4, first 2 shown]
	v_fma_f16 v32, v33, s14, -v34
	v_add_f16_e32 v81, v81, v85
	v_add_f16_e32 v79, v79, v83
	v_add_f16_e32 v78, v78, v82
	v_add_f16_e32 v80, v80, v84
	v_add_f16_e32 v70, v70, v75
	v_add_f16_e32 v72, v72, v76
	v_fma_f16 v75, v33, s10, v73
	v_fma_f16 v73, v33, s10, -v73
	v_fma_f16 v76, v33, s14, v34
	v_add_f16_e32 v30, v32, v30
	v_pack_b32_f16 v32, v62, v71
	v_pack_b32_f16 v33, v37, v66
	v_add_f16_e32 v77, v77, v81
	v_add_f16_e32 v75, v75, v79
	;; [unrolled: 1-line block ×4, first 2 shown]
	ds_write2_b32 v40, v32, v33 offset1:84
	v_pack_b32_f16 v32, v51, v67
	v_pack_b32_f16 v33, v65, v70
	v_add_f16_e32 v73, v73, v77
	ds_write2_b32 v40, v32, v33 offset0:168 offset1:252
	v_pack_b32_f16 v32, v72, v75
	v_pack_b32_f16 v33, v74, v76
	ds_write2_b32 v13, v32, v33 offset0:80 offset1:164
	v_pack_b32_f16 v13, v31, v30
	v_pack_b32_f16 v30, v69, v73
	;; [unrolled: 3-line block ×3, first 2 shown]
	ds_write2_b32 v11, v13, v30 offset0:160 offset1:244
	v_pack_b32_f16 v11, v36, v38
	ds_write_b32 v40, v11 offset:3360
	s_and_saveexec_b64 s[4:5], s[2:3]
	s_cbranch_execz .LBB0_23
; %bb.22:
	v_subrev_u32_e32 v11, 40, v0
	v_cndmask_b32_e64 v11, v11, v2, s[2:3]
	v_mul_i32_i24_e32 v30, 10, v11
	v_mov_b32_e32 v31, 0
	v_lshlrev_b64 v[30:31], 2, v[30:31]
	v_mov_b32_e32 v11, s9
	v_add_co_u32_e64 v38, s[2:3], s8, v30
	v_addc_co_u32_e64 v39, s[2:3], v11, v31, s[2:3]
	global_load_dwordx2 v[51:52], v[38:39], off offset:360
	global_load_dwordx4 v[30:33], v[38:39], off offset:328
	global_load_dwordx4 v[34:37], v[38:39], off offset:344
	s_movk_i32 s2, 0x3a0c
	s_waitcnt vmcnt(2)
	v_mul_f16_sdwa v11, v21, v52 dst_sel:DWORD dst_unused:UNUSED_PAD src0_sel:DWORD src1_sel:WORD_1
	s_waitcnt vmcnt(1)
	v_mul_f16_sdwa v13, v22, v30 dst_sel:DWORD dst_unused:UNUSED_PAD src0_sel:DWORD src1_sel:WORD_1
	v_mul_f16_sdwa v38, v54, v30 dst_sel:DWORD dst_unused:UNUSED_PAD src0_sel:DWORD src1_sel:WORD_1
	;; [unrolled: 1-line block ×7, first 2 shown]
	s_waitcnt vmcnt(0)
	v_mul_f16_sdwa v70, v28, v36 dst_sel:DWORD dst_unused:UNUSED_PAD src0_sel:DWORD src1_sel:WORD_1
	v_mul_f16_sdwa v73, v59, v36 dst_sel:DWORD dst_unused:UNUSED_PAD src0_sel:DWORD src1_sel:WORD_1
	;; [unrolled: 1-line block ×4, first 2 shown]
	v_fma_f16 v9, v9, v52, v11
	v_fma_f16 v11, v54, v30, v13
	v_mul_f16_sdwa v64, v53, v31 dst_sel:DWORD dst_unused:UNUSED_PAD src0_sel:DWORD src1_sel:WORD_1
	v_mul_f16_sdwa v65, v61, v51 dst_sel:DWORD dst_unused:UNUSED_PAD src0_sel:DWORD src1_sel:WORD_1
	;; [unrolled: 1-line block ×8, first 2 shown]
	v_fma_f16 v13, v22, v30, -v38
	v_fma_f16 v21, v21, v52, -v39
	v_fma_f16 v22, v61, v51, v62
	v_fma_f16 v30, v53, v31, v63
	;; [unrolled: 1-line block ×3, first 2 shown]
	v_fma_f16 v24, v24, v32, -v68
	v_fma_f16 v32, v59, v36, v70
	v_fma_f16 v28, v28, v36, -v73
	v_fma_f16 v36, v57, v34, v75
	v_fma_f16 v26, v26, v34, -v76
	v_add_f16_e32 v34, v11, v9
	v_fma_f16 v23, v23, v31, -v64
	v_fma_f16 v20, v20, v51, -v65
	v_fma_f16 v31, v60, v37, v66
	v_fma_f16 v29, v29, v37, -v69
	v_fma_f16 v37, v56, v33, v71
	;; [unrolled: 2-line block ×3, first 2 shown]
	v_fma_f16 v27, v27, v35, -v77
	v_sub_f16_e32 v35, v13, v21
	v_add_f16_e32 v39, v30, v22
	v_mul_f16_e32 v66, 0x3abb, v34
	v_sub_f16_e32 v51, v23, v20
	v_add_f16_e32 v52, v38, v31
	v_sub_f16_e32 v59, v11, v9
	v_mul_f16_e32 v67, 0x36a6, v39
	v_fma_f16 v74, v35, s22, v66
	v_sub_f16_e32 v53, v24, v29
	v_add_f16_e32 v54, v37, v32
	v_add_f16_e32 v58, v13, v21
	v_sub_f16_e32 v61, v30, v22
	v_mul_f16_e32 v68, 0xb08e, v52
	v_mul_f16_e32 v71, 0xb853, v59
	v_fma_f16 v75, v51, s23, v67
	v_add_f16_e32 v74, v17, v74
	v_sub_f16_e32 v55, v25, v28
	v_add_f16_e32 v56, v36, v33
	v_add_f16_e32 v60, v23, v20
	v_sub_f16_e32 v63, v38, v31
	v_mul_f16_e32 v69, 0xb93d, v54
	v_mul_f16_e32 v72, 0xbb47, v61
	v_fma_f16 v76, v53, s21, v68
	v_fma_f16 v79, v58, s6, v71
	v_add_f16_e32 v74, v75, v74
	v_sub_f16_e32 v57, v26, v27
	v_add_f16_e32 v62, v24, v29
	v_sub_f16_e32 v65, v37, v32
	v_mul_f16_e32 v70, 0xbbad, v56
	v_mul_f16_e32 v73, 0xbbeb, v63
	v_fma_f16 v77, v55, s2, v69
	v_fma_f16 v80, v60, s10, v72
	v_add_f16_e32 v79, v15, v79
	v_add_f16_e32 v74, v76, v74
	;; [unrolled: 1-line block ×3, first 2 shown]
	v_fma_f16 v78, v57, s20, v70
	v_fma_f16 v81, v62, s14, v73
	v_add_f16_e32 v75, v80, v79
	v_add_f16_e32 v74, v77, v74
	v_mul_f16_e32 v76, 0xba0c, v65
	v_add_f16_e32 v75, v81, v75
	v_add_f16_e32 v74, v78, v74
	v_fma_f16 v77, v64, s16, v76
	v_sub_f16_e32 v78, v36, v33
	v_add_f16_e32 v75, v77, v75
	v_add_f16_e32 v77, v26, v27
	v_mul_f16_e32 v79, 0xb482, v78
	v_fma_f16 v80, v77, s18, v79
	v_add_f16_e32 v75, v80, v75
	v_mul_f16_e32 v80, 0x36a6, v34
	v_fma_f16 v81, v35, s23, v80
	v_mul_f16_e32 v82, 0xb93d, v39
	v_add_f16_e32 v81, v17, v81
	v_fma_f16 v83, v51, s2, v82
	v_add_f16_e32 v81, v83, v81
	v_mul_f16_e32 v83, 0xbbad, v52
	v_fma_f16 v84, v53, s19, v83
	v_add_f16_e32 v81, v84, v81
	v_mul_f16_e32 v84, 0xb08e, v54
	v_fma_f16 v85, v55, s15, v84
	v_add_f16_e32 v81, v85, v81
	v_mul_f16_e32 v85, 0x3abb, v56
	v_fma_f16 v86, v57, s7, v85
	v_add_f16_e32 v81, v86, v81
	v_mul_f16_e32 v86, 0xbb47, v59
	v_fma_f16 v87, v58, s10, v86
	v_mul_f16_e32 v88, 0xba0c, v61
	v_add_f16_e32 v87, v15, v87
	v_fma_f16 v89, v60, s16, v88
	v_add_f16_e32 v87, v89, v87
	v_mul_f16_e32 v89, 0x3482, v63
	v_fma_f16 v90, v62, s18, v89
	v_add_f16_e32 v87, v90, v87
	v_mul_f16_e32 v90, 0x3beb, v65
	v_fma_f16 v91, v64, s14, v90
	;; [unrolled: 15-line block ×6, first 2 shown]
	v_add_f16_e32 v111, v115, v111
	v_mul_f16_e32 v115, 0x3b47, v78
	v_fma_f16 v116, v77, s10, v115
	v_mul_f16_e32 v34, 0xbbad, v34
	v_add_f16_e32 v111, v116, v111
	v_fma_f16 v116, v35, s20, v34
	v_mul_f16_e32 v39, 0x3abb, v39
	v_fma_f16 v34, v35, s19, v34
	v_fma_f16 v117, v51, s7, v39
	v_mul_f16_e32 v52, 0xb93d, v52
	v_add_f16_e32 v34, v17, v34
	v_fma_f16 v39, v51, s22, v39
	v_mul_f16_e32 v54, 0x36a6, v54
	v_add_f16_e32 v34, v39, v34
	v_fma_f16 v39, v53, s17, v52
	v_mul_f16_e32 v56, 0xb08e, v56
	v_add_f16_e32 v34, v39, v34
	v_fma_f16 v39, v55, s23, v54
	v_mul_f16_e32 v59, 0xb482, v59
	v_add_f16_e32 v34, v39, v34
	v_fma_f16 v39, v57, s15, v56
	v_add_f16_e32 v116, v17, v116
	v_mul_f16_e32 v61, 0x3853, v61
	v_add_f16_e32 v34, v39, v34
	v_fma_f16 v39, v58, s18, -v59
	v_add_f16_e32 v116, v117, v116
	v_fma_f16 v117, v53, s2, v52
	v_mul_f16_e32 v63, 0xba0c, v63
	v_add_f16_e32 v39, v15, v39
	v_fma_f16 v52, v60, s6, -v61
	v_mul_f16_e32 v65, 0x3b47, v65
	v_add_f16_e32 v39, v52, v39
	v_fma_f16 v52, v62, s16, -v63
	;; [unrolled: 3-line block ×3, first 2 shown]
	v_add_f16_e32 v39, v52, v39
	v_fma_f16 v52, v77, s14, -v78
	v_add_f16_e32 v39, v52, v39
	v_fma_f16 v52, v35, s17, v104
	v_add_f16_e32 v116, v117, v116
	v_fma_f16 v117, v55, s11, v54
	;; [unrolled: 2-line block ×6, first 2 shown]
	v_add_f16_e32 v52, v54, v52
	v_fma_f16 v54, v58, s16, -v110
	v_add_f16_e32 v116, v117, v116
	v_fma_f16 v117, v57, s21, v56
	v_add_f16_e32 v54, v15, v54
	v_fma_f16 v56, v60, s14, -v112
	v_add_f16_e32 v54, v56, v54
	v_fma_f16 v56, v62, s6, -v113
	;; [unrolled: 2-line block ×4, first 2 shown]
	v_add_f16_e32 v54, v56, v54
	v_fma_f16 v56, v35, s15, v92
	v_add_f16_e32 v116, v117, v116
	v_fma_f16 v117, v58, s18, v59
	;; [unrolled: 2-line block ×6, first 2 shown]
	v_add_f16_e32 v56, v59, v56
	v_fma_f16 v59, v58, s14, -v98
	v_fma_f16 v118, v60, s6, v61
	v_add_f16_e32 v59, v15, v59
	v_fma_f16 v61, v60, s18, -v100
	v_add_f16_e32 v59, v61, v59
	v_fma_f16 v61, v62, s10, -v101
	;; [unrolled: 2-line block ×4, first 2 shown]
	v_add_f16_e32 v117, v15, v117
	v_add_f16_e32 v59, v61, v59
	v_fma_f16 v61, v35, s11, v80
	v_fma_f16 v35, v35, s7, v66
	v_add_f16_e32 v117, v118, v117
	v_fma_f16 v118, v62, s16, v63
	v_fma_f16 v63, v51, s17, v82
	v_add_f16_e32 v35, v17, v35
	v_fma_f16 v51, v51, s11, v67
	v_add_f16_e32 v13, v15, v13
	v_add_f16_e32 v11, v17, v11
	;; [unrolled: 1-line block ×4, first 2 shown]
	v_fma_f16 v51, v53, s15, v68
	v_add_f16_e32 v13, v13, v23
	v_add_f16_e32 v11, v11, v30
	v_add_f16_e32 v61, v63, v61
	v_fma_f16 v63, v53, s20, v83
	v_add_f16_e32 v35, v51, v35
	v_fma_f16 v51, v55, s17, v69
	v_add_f16_e32 v13, v13, v24
	v_add_f16_e32 v11, v11, v38
	v_add_f16_e32 v61, v63, v61
	v_fma_f16 v63, v55, s21, v84
	v_add_f16_e32 v35, v51, v35
	;; [unrolled: 6-line block ×3, first 2 shown]
	v_fma_f16 v51, v58, s6, -v71
	v_add_f16_e32 v13, v13, v26
	v_add_f16_e32 v11, v11, v36
	;; [unrolled: 1-line block ×3, first 2 shown]
	v_fma_f16 v63, v58, s10, -v86
	v_add_f16_e32 v51, v15, v51
	v_fma_f16 v53, v60, s10, -v72
	v_add_f16_e32 v13, v13, v27
	v_add_f16_e32 v11, v11, v33
	;; [unrolled: 1-line block ×3, first 2 shown]
	v_fma_f16 v118, v64, s10, v65
	v_add_f16_e32 v63, v15, v63
	v_fma_f16 v65, v60, s16, -v88
	v_add_f16_e32 v51, v53, v51
	v_fma_f16 v53, v62, s14, -v73
	v_add_f16_e32 v13, v13, v28
	v_add_f16_e32 v11, v11, v32
	v_add_f16_e32 v63, v65, v63
	v_fma_f16 v65, v62, s18, -v89
	v_add_f16_e32 v51, v53, v51
	v_fma_f16 v53, v64, s16, -v76
	v_add_f16_e32 v13, v13, v29
	v_add_f16_e32 v11, v11, v31
	;; [unrolled: 6-line block ×3, first 2 shown]
	v_add_f16_e32 v63, v65, v63
	v_fma_f16 v65, v77, s6, -v91
	v_add_f16_e32 v51, v53, v51
	v_add_f16_e32 v13, v13, v21
	;; [unrolled: 1-line block ×4, first 2 shown]
	v_pack_b32_f16 v9, v13, v9
	v_pack_b32_f16 v11, v51, v35
	v_add_f16_e32 v117, v118, v117
	v_fma_f16 v118, v77, s14, v78
	ds_write2_b32 v40, v9, v11 offset0:44 offset1:128
	v_pack_b32_f16 v9, v63, v61
	v_pack_b32_f16 v11, v59, v56
	v_add_u32_e32 v13, 0x200, v40
	v_add_f16_e32 v117, v118, v117
	ds_write2_b32 v13, v9, v11 offset0:84 offset1:168
	v_pack_b32_f16 v9, v54, v52
	v_pack_b32_f16 v11, v39, v34
	v_add_u32_e32 v13, 0x400, v40
	ds_write2_b32 v13, v9, v11 offset0:124 offset1:208
	v_pack_b32_f16 v9, v117, v116
	v_pack_b32_f16 v11, v111, v105
	v_add_u32_e32 v13, 0x800, v40
	;; [unrolled: 4-line block ×3, first 2 shown]
	ds_write2_b32 v13, v9, v11 offset0:76 offset1:160
	v_pack_b32_f16 v9, v75, v74
	ds_write_b32 v40, v9 offset:3536
.LBB0_23:
	s_or_b64 exec, exec, s[4:5]
	s_waitcnt lgkmcnt(0)
	; wave barrier
	s_waitcnt lgkmcnt(0)
	ds_read_b32 v15, v40
	v_sub_u32_e32 v21, 0, v1
	v_cmp_ne_u32_e64 s[2:3], 0, v0
                                        ; implicit-def: $vgpr13
                                        ; implicit-def: $vgpr11
                                        ; implicit-def: $vgpr9
	s_and_saveexec_b64 s[4:5], s[2:3]
	s_xor_b64 s[4:5], exec, s[4:5]
	s_cbranch_execz .LBB0_25
; %bb.24:
	v_mov_b32_e32 v1, 0
	v_lshlrev_b64 v[22:23], 2, v[0:1]
	v_mov_b32_e32 v1, s9
	v_add_co_u32_e64 v22, s[2:3], s8, v22
	v_addc_co_u32_e64 v23, s[2:3], v1, v23, s[2:3]
	global_load_dword v1, v[22:23], off offset:3688
	ds_read_b32 v9, v21 offset:3696
	s_waitcnt lgkmcnt(0)
	v_sub_f16_e32 v17, v15, v9
	v_add_f16_e32 v11, v9, v15
	v_add_f16_sdwa v13, v9, v15 dst_sel:DWORD dst_unused:UNUSED_PAD src0_sel:WORD_1 src1_sel:WORD_1
	v_sub_f16_sdwa v9, v15, v9 dst_sel:DWORD dst_unused:UNUSED_PAD src0_sel:WORD_1 src1_sel:WORD_1
	v_mul_f16_e32 v15, 0.5, v17
	v_mul_f16_e32 v13, 0.5, v13
	;; [unrolled: 1-line block ×3, first 2 shown]
	s_waitcnt vmcnt(0)
	v_lshrrev_b32_e32 v17, 16, v1
	v_mul_f16_e32 v20, v17, v15
	v_fma_f16 v23, v11, 0.5, v20
	v_fma_f16 v22, v13, v17, v9
	v_fma_f16 v17, v13, v17, -v9
	v_fma_f16 v11, v11, 0.5, -v20
	v_fma_f16 v20, v1, v13, v23
	v_fma_f16 v9, -v1, v15, v22
	v_fma_f16 v11, -v1, v13, v11
	ds_write_b16 v40, v20
	v_fma_f16 v13, -v1, v15, v17
                                        ; implicit-def: $vgpr15
.LBB0_25:
	s_or_saveexec_b64 s[2:3], s[4:5]
	v_sub_u32_e32 v1, 0, v3
	s_xor_b64 exec, exec, s[2:3]
	s_cbranch_execz .LBB0_27
; %bb.26:
	v_mov_b32_e32 v9, 0
	ds_read_u16 v3, v9 offset:1850
	s_waitcnt lgkmcnt(1)
	v_add_f16_sdwa v13, v15, v15 dst_sel:DWORD dst_unused:UNUSED_PAD src0_sel:WORD_1 src1_sel:DWORD
	v_sub_f16_sdwa v11, v15, v15 dst_sel:DWORD dst_unused:UNUSED_PAD src0_sel:DWORD src1_sel:WORD_1
	ds_write_b16 v40, v13
	v_mov_b32_e32 v13, 0
	s_waitcnt lgkmcnt(1)
	v_xor_b32_e32 v3, 0x8000, v3
	ds_write_b16 v9, v3 offset:1850
.LBB0_27:
	s_or_b64 exec, exec, s[2:3]
	v_mov_b32_e32 v3, 0
	v_lshlrev_b64 v[22:23], 2, v[2:3]
	v_mov_b32_e32 v2, s9
	v_add_co_u32_e64 v22, s[2:3], s8, v22
	v_addc_co_u32_e64 v23, s[2:3], v2, v23, s[2:3]
	global_load_dword v22, v[22:23], off offset:3688
	v_mov_b32_e32 v20, v3
	v_lshlrev_b64 v[19:20], 2, v[19:20]
	ds_write_b16 v40, v9 offset:2
	v_add_co_u32_e64 v19, s[2:3], s8, v19
	v_addc_co_u32_e64 v20, s[2:3], v2, v20, s[2:3]
	global_load_dword v20, v[19:20], off offset:3688
	v_mov_b32_e32 v9, v3
	v_lshlrev_b64 v[8:9], 2, v[8:9]
	s_mov_b32 s2, 0x5040100
	v_perm_b32 v23, v13, v11, s2
	v_add_co_u32_e64 v8, s[2:3], s8, v8
	ds_write_b32 v21, v23 offset:3696
	v_addc_co_u32_e64 v9, s[2:3], v2, v9, s[2:3]
	ds_read_b32 v23, v49
	ds_read_b32 v24, v21 offset:3520
	global_load_dword v25, v[8:9], off offset:3688
	v_mov_b32_e32 v11, v3
	v_lshlrev_b64 v[10:11], 2, v[10:11]
	v_mov_b32_e32 v13, v3
	v_lshlrev_b64 v[12:13], 2, v[12:13]
	v_add_co_u32_e64 v8, s[2:3], s8, v10
	s_waitcnt lgkmcnt(4)
	v_mov_b32_e32 v15, v3
	v_addc_co_u32_e64 v9, s[2:3], v2, v11, s[2:3]
	v_lshlrev_b64 v[14:15], 2, v[14:15]
	v_add_co_u32_e64 v10, s[2:3], s8, v12
	v_mov_b32_e32 v17, v3
	v_addc_co_u32_e64 v11, s[2:3], v2, v13, s[2:3]
	v_lshlrev_b64 v[16:17], 2, v[16:17]
	v_add_co_u32_e64 v12, s[2:3], s8, v14
	;; [unrolled: 4-line block ×3, first 2 shown]
	v_addc_co_u32_e64 v15, s[2:3], v2, v17, s[2:3]
	v_add_co_u32_e64 v16, s[2:3], s8, v18
	v_addc_co_u32_e64 v17, s[2:3], v2, v19, s[2:3]
	global_load_dword v18, v[8:9], off offset:3688
	global_load_dword v19, v[10:11], off offset:3688
	;; [unrolled: 1-line block ×5, first 2 shown]
	s_mov_b32 s4, 0xffff
	s_waitcnt lgkmcnt(0)
	v_pk_add_f16 v8, v23, v24 neg_lo:[0,1] neg_hi:[0,1]
	v_pk_add_f16 v9, v23, v24
	v_bfi_b32 v10, s4, v8, v9
	v_bfi_b32 v8, s4, v9, v8
	v_pk_mul_f16 v9, v10, 0.5 op_sel_hi:[1,0]
	v_pk_mul_f16 v8, v8, 0.5 op_sel_hi:[1,0]
	v_add_u32_e32 v1, v41, v1
	s_waitcnt vmcnt(7)
	v_pk_fma_f16 v10, v22, v9, v8 op_sel:[1,0,0]
	v_pk_mul_f16 v11, v22, v9 op_sel_hi:[0,1]
	v_pk_fma_f16 v12, v22, v9, v8 op_sel:[1,0,0] neg_lo:[1,0,0] neg_hi:[1,0,0]
	v_pk_fma_f16 v8, v22, v9, v8 op_sel:[1,0,0] neg_lo:[0,0,1] neg_hi:[0,0,1]
	v_pk_add_f16 v9, v10, v11 op_sel:[0,1] op_sel_hi:[1,0]
	v_pk_add_f16 v10, v10, v11 op_sel:[0,1] op_sel_hi:[1,0] neg_lo:[0,1] neg_hi:[0,1]
	v_pk_add_f16 v12, v12, v11 op_sel:[0,1] op_sel_hi:[1,0] neg_lo:[0,1] neg_hi:[0,1]
	;; [unrolled: 1-line block ×3, first 2 shown]
	v_bfi_b32 v9, s4, v9, v10
	v_bfi_b32 v8, s4, v12, v8
	ds_write_b32 v49, v9
	ds_write_b32 v21, v8 offset:3520
	ds_read_b32 v8, v48
	ds_read_b32 v9, v21 offset:3344
	s_waitcnt lgkmcnt(0)
	v_pk_add_f16 v10, v8, v9 neg_lo:[0,1] neg_hi:[0,1]
	v_pk_add_f16 v8, v8, v9
	v_bfi_b32 v9, s4, v10, v8
	v_bfi_b32 v8, s4, v8, v10
	v_pk_mul_f16 v9, v9, 0.5 op_sel_hi:[1,0]
	v_pk_mul_f16 v8, v8, 0.5 op_sel_hi:[1,0]
	s_waitcnt vmcnt(6)
	v_pk_fma_f16 v10, v20, v9, v8 op_sel:[1,0,0]
	v_pk_mul_f16 v11, v20, v9 op_sel_hi:[0,1]
	v_pk_fma_f16 v12, v20, v9, v8 op_sel:[1,0,0] neg_lo:[1,0,0] neg_hi:[1,0,0]
	v_pk_fma_f16 v8, v20, v9, v8 op_sel:[1,0,0] neg_lo:[0,0,1] neg_hi:[0,0,1]
	v_pk_add_f16 v9, v10, v11 op_sel:[0,1] op_sel_hi:[1,0]
	v_pk_add_f16 v10, v10, v11 op_sel:[0,1] op_sel_hi:[1,0] neg_lo:[0,1] neg_hi:[0,1]
	v_pk_add_f16 v12, v12, v11 op_sel:[0,1] op_sel_hi:[1,0] neg_lo:[0,1] neg_hi:[0,1]
	;; [unrolled: 1-line block ×3, first 2 shown]
	v_bfi_b32 v9, s4, v9, v10
	v_bfi_b32 v8, s4, v12, v8
	ds_write_b32 v48, v9
	ds_write_b32 v21, v8 offset:3344
	ds_read_b32 v8, v47
	ds_read_b32 v9, v21 offset:3168
	s_waitcnt lgkmcnt(0)
	v_pk_add_f16 v10, v8, v9 neg_lo:[0,1] neg_hi:[0,1]
	v_pk_add_f16 v8, v8, v9
	v_bfi_b32 v9, s4, v10, v8
	v_bfi_b32 v8, s4, v8, v10
	v_pk_mul_f16 v9, v9, 0.5 op_sel_hi:[1,0]
	v_pk_mul_f16 v8, v8, 0.5 op_sel_hi:[1,0]
	s_waitcnt vmcnt(5)
	v_pk_fma_f16 v10, v25, v9, v8 op_sel:[1,0,0]
	v_pk_mul_f16 v11, v25, v9 op_sel_hi:[0,1]
	v_pk_add_f16 v12, v10, v11 op_sel:[0,1] op_sel_hi:[1,0]
	v_pk_add_f16 v10, v10, v11 op_sel:[0,1] op_sel_hi:[1,0] neg_lo:[0,1] neg_hi:[0,1]
	v_bfi_b32 v10, s4, v12, v10
	ds_write_b32 v47, v10
	v_pk_fma_f16 v10, v25, v9, v8 op_sel:[1,0,0] neg_lo:[1,0,0] neg_hi:[1,0,0]
	v_pk_fma_f16 v8, v25, v9, v8 op_sel:[1,0,0] neg_lo:[0,0,1] neg_hi:[0,0,1]
	v_pk_add_f16 v10, v10, v11 op_sel:[0,1] op_sel_hi:[1,0] neg_lo:[0,1] neg_hi:[0,1]
	v_pk_add_f16 v8, v8, v11 op_sel:[0,1] op_sel_hi:[1,0] neg_lo:[0,1] neg_hi:[0,1]
	v_bfi_b32 v8, s4, v10, v8
	ds_write_b32 v21, v8 offset:3168
	ds_read_b32 v8, v46
	ds_read_b32 v9, v21 offset:2992
	s_waitcnt lgkmcnt(0)
	v_pk_add_f16 v10, v8, v9 neg_lo:[0,1] neg_hi:[0,1]
	v_pk_add_f16 v8, v8, v9
	v_bfi_b32 v9, s4, v10, v8
	v_bfi_b32 v8, s4, v8, v10
	v_pk_mul_f16 v9, v9, 0.5 op_sel_hi:[1,0]
	v_pk_mul_f16 v8, v8, 0.5 op_sel_hi:[1,0]
	s_waitcnt vmcnt(4)
	v_pk_fma_f16 v10, v18, v9, v8 op_sel:[1,0,0]
	v_pk_mul_f16 v11, v18, v9 op_sel_hi:[0,1]
	v_pk_add_f16 v12, v10, v11 op_sel:[0,1] op_sel_hi:[1,0]
	v_pk_add_f16 v10, v10, v11 op_sel:[0,1] op_sel_hi:[1,0] neg_lo:[0,1] neg_hi:[0,1]
	v_bfi_b32 v10, s4, v12, v10
	ds_write_b32 v46, v10
	v_pk_fma_f16 v10, v18, v9, v8 op_sel:[1,0,0] neg_lo:[1,0,0] neg_hi:[1,0,0]
	v_pk_fma_f16 v8, v18, v9, v8 op_sel:[1,0,0] neg_lo:[0,0,1] neg_hi:[0,0,1]
	v_pk_add_f16 v10, v10, v11 op_sel:[0,1] op_sel_hi:[1,0] neg_lo:[0,1] neg_hi:[0,1]
	v_pk_add_f16 v8, v8, v11 op_sel:[0,1] op_sel_hi:[1,0] neg_lo:[0,1] neg_hi:[0,1]
	v_bfi_b32 v8, s4, v10, v8
	;; [unrolled: 22-line block ×3, first 2 shown]
	ds_write_b32 v21, v8 offset:2816
	v_mov_b32_e32 v8, v3
	v_lshlrev_b64 v[7:8], 2, v[7:8]
	ds_read_b32 v9, v44
	ds_read_b32 v10, v21 offset:2640
	v_add_co_u32_e64 v7, s[2:3], s8, v7
	v_addc_co_u32_e64 v8, s[2:3], v2, v8, s[2:3]
	global_load_dword v2, v[7:8], off offset:3688
	s_waitcnt lgkmcnt(0)
	v_pk_add_f16 v7, v9, v10 neg_lo:[0,1] neg_hi:[0,1]
	v_pk_add_f16 v8, v9, v10
	v_bfi_b32 v9, s4, v7, v8
	v_bfi_b32 v7, s4, v8, v7
	v_pk_mul_f16 v8, v9, 0.5 op_sel_hi:[1,0]
	v_pk_mul_f16 v7, v7, 0.5 op_sel_hi:[1,0]
	s_waitcnt vmcnt(3)
	v_pk_fma_f16 v9, v26, v8, v7 op_sel:[1,0,0]
	v_pk_mul_f16 v10, v26, v8 op_sel_hi:[0,1]
	v_pk_add_f16 v11, v9, v10 op_sel:[0,1] op_sel_hi:[1,0]
	v_pk_add_f16 v9, v9, v10 op_sel:[0,1] op_sel_hi:[1,0] neg_lo:[0,1] neg_hi:[0,1]
	v_bfi_b32 v9, s4, v11, v9
	ds_write_b32 v44, v9
	v_pk_fma_f16 v9, v26, v8, v7 op_sel:[1,0,0] neg_lo:[1,0,0] neg_hi:[1,0,0]
	v_pk_fma_f16 v7, v26, v8, v7 op_sel:[1,0,0] neg_lo:[0,0,1] neg_hi:[0,0,1]
	v_pk_add_f16 v9, v9, v10 op_sel:[0,1] op_sel_hi:[1,0] neg_lo:[0,1] neg_hi:[0,1]
	v_pk_add_f16 v7, v7, v10 op_sel:[0,1] op_sel_hi:[1,0] neg_lo:[0,1] neg_hi:[0,1]
	v_bfi_b32 v7, s4, v9, v7
	ds_write_b32 v21, v7 offset:2640
	ds_read_b32 v7, v43
	ds_read_b32 v8, v21 offset:2464
	s_waitcnt lgkmcnt(0)
	v_pk_add_f16 v9, v7, v8 neg_lo:[0,1] neg_hi:[0,1]
	v_pk_add_f16 v7, v7, v8
	v_bfi_b32 v8, s4, v9, v7
	v_bfi_b32 v7, s4, v7, v9
	v_pk_mul_f16 v8, v8, 0.5 op_sel_hi:[1,0]
	v_pk_mul_f16 v7, v7, 0.5 op_sel_hi:[1,0]
	s_waitcnt vmcnt(2)
	v_pk_fma_f16 v9, v27, v8, v7 op_sel:[1,0,0]
	v_pk_mul_f16 v10, v27, v8 op_sel_hi:[0,1]
	v_pk_add_f16 v11, v9, v10 op_sel:[0,1] op_sel_hi:[1,0]
	v_pk_add_f16 v9, v9, v10 op_sel:[0,1] op_sel_hi:[1,0] neg_lo:[0,1] neg_hi:[0,1]
	v_bfi_b32 v9, s4, v11, v9
	ds_write_b32 v43, v9
	v_pk_fma_f16 v9, v27, v8, v7 op_sel:[1,0,0] neg_lo:[1,0,0] neg_hi:[1,0,0]
	v_pk_fma_f16 v7, v27, v8, v7 op_sel:[1,0,0] neg_lo:[0,0,1] neg_hi:[0,0,1]
	v_pk_add_f16 v9, v9, v10 op_sel:[0,1] op_sel_hi:[1,0] neg_lo:[0,1] neg_hi:[0,1]
	v_pk_add_f16 v7, v7, v10 op_sel:[0,1] op_sel_hi:[1,0] neg_lo:[0,1] neg_hi:[0,1]
	v_bfi_b32 v7, s4, v9, v7
	ds_write_b32 v21, v7 offset:2464
	ds_read_b32 v7, v1
	ds_read_b32 v8, v21 offset:2288
	;; [unrolled: 22-line block ×3, first 2 shown]
	s_waitcnt lgkmcnt(0)
	v_pk_add_f16 v8, v1, v7 neg_lo:[0,1] neg_hi:[0,1]
	v_pk_add_f16 v1, v1, v7
	v_bfi_b32 v7, s4, v8, v1
	v_bfi_b32 v1, s4, v1, v8
	v_pk_mul_f16 v7, v7, 0.5 op_sel_hi:[1,0]
	v_pk_mul_f16 v1, v1, 0.5 op_sel_hi:[1,0]
	s_waitcnt vmcnt(0)
	v_pk_fma_f16 v8, v2, v7, v1 op_sel:[1,0,0]
	v_pk_mul_f16 v9, v2, v7 op_sel_hi:[0,1]
	v_pk_add_f16 v10, v8, v9 op_sel:[0,1] op_sel_hi:[1,0]
	v_pk_add_f16 v8, v8, v9 op_sel:[0,1] op_sel_hi:[1,0] neg_lo:[0,1] neg_hi:[0,1]
	v_bfi_b32 v8, s4, v10, v8
	ds_write_b32 v50, v8
	v_pk_fma_f16 v8, v2, v7, v1 op_sel:[1,0,0] neg_lo:[1,0,0] neg_hi:[1,0,0]
	v_pk_fma_f16 v1, v2, v7, v1 op_sel:[1,0,0] neg_lo:[0,0,1] neg_hi:[0,0,1]
	v_pk_add_f16 v8, v8, v9 op_sel:[0,1] op_sel_hi:[1,0] neg_lo:[0,1] neg_hi:[0,1]
	v_pk_add_f16 v1, v1, v9 op_sel:[0,1] op_sel_hi:[1,0] neg_lo:[0,1] neg_hi:[0,1]
	v_bfi_b32 v1, s4, v8, v1
	ds_write_b32 v21, v1 offset:2112
	s_and_saveexec_b64 s[2:3], s[0:1]
	s_cbranch_execz .LBB0_29
; %bb.28:
	v_mov_b32_e32 v7, v3
	v_lshlrev_b64 v[1:2], 2, v[6:7]
	v_mov_b32_e32 v3, s9
	v_add_co_u32_e64 v1, s[0:1], s8, v1
	v_addc_co_u32_e64 v2, s[0:1], v3, v2, s[0:1]
	global_load_dword v1, v[1:2], off offset:3688
	ds_read_b32 v2, v42
	ds_read_b32 v3, v21 offset:1936
	s_waitcnt lgkmcnt(0)
	v_pk_add_f16 v6, v2, v3 neg_lo:[0,1] neg_hi:[0,1]
	v_pk_add_f16 v2, v2, v3
	v_bfi_b32 v3, s4, v6, v2
	v_bfi_b32 v2, s4, v2, v6
	v_pk_mul_f16 v3, v3, 0.5 op_sel_hi:[1,0]
	v_pk_mul_f16 v2, v2, 0.5 op_sel_hi:[1,0]
	s_waitcnt vmcnt(0)
	v_pk_fma_f16 v6, v1, v3, v2 op_sel:[1,0,0]
	v_pk_mul_f16 v7, v1, v3 op_sel_hi:[0,1]
	v_pk_fma_f16 v8, v1, v3, v2 op_sel:[1,0,0] neg_lo:[1,0,0] neg_hi:[1,0,0]
	v_pk_fma_f16 v1, v1, v3, v2 op_sel:[1,0,0] neg_lo:[0,0,1] neg_hi:[0,0,1]
	v_pk_add_f16 v2, v6, v7 op_sel:[0,1] op_sel_hi:[1,0]
	v_pk_add_f16 v3, v6, v7 op_sel:[0,1] op_sel_hi:[1,0] neg_lo:[0,1] neg_hi:[0,1]
	v_pk_add_f16 v6, v8, v7 op_sel:[0,1] op_sel_hi:[1,0] neg_lo:[0,1] neg_hi:[0,1]
	;; [unrolled: 1-line block ×3, first 2 shown]
	v_bfi_b32 v2, s4, v2, v3
	v_bfi_b32 v1, s4, v6, v1
	ds_write_b32 v42, v2
	ds_write_b32 v21, v1 offset:1936
.LBB0_29:
	s_or_b64 exec, exec, s[2:3]
	s_waitcnt lgkmcnt(0)
	; wave barrier
	s_waitcnt lgkmcnt(0)
	s_and_saveexec_b64 s[0:1], vcc
	s_cbranch_execz .LBB0_32
; %bb.30:
	v_mov_b32_e32 v1, 0
	ds_read2_b32 v[6:7], v40 offset1:44
	v_mov_b32_e32 v3, s13
	v_add_co_u32_e32 v2, vcc, s12, v4
	v_addc_co_u32_e32 v3, vcc, v3, v5, vcc
	v_lshlrev_b64 v[4:5], 2, v[0:1]
	ds_read2_b32 v[8:9], v40 offset0:88 offset1:132
	v_add_co_u32_e32 v4, vcc, v2, v4
	v_addc_co_u32_e32 v5, vcc, v3, v5, vcc
	s_waitcnt lgkmcnt(1)
	global_store_dword v[4:5], v6, off
	global_store_dword v[4:5], v7, off offset:176
	s_waitcnt lgkmcnt(0)
	global_store_dword v[4:5], v8, off offset:352
	ds_read2_b32 v[6:7], v40 offset0:176 offset1:220
	v_add_u32_e32 v12, 0x400, v40
	ds_read2_b32 v[10:11], v12 offset0:8 offset1:52
	global_store_dword v[4:5], v9, off offset:528
	ds_read2_b32 v[8:9], v12 offset0:96 offset1:140
	s_waitcnt lgkmcnt(2)
	global_store_dword v[4:5], v6, off offset:704
	global_store_dword v[4:5], v7, off offset:880
	s_waitcnt lgkmcnt(1)
	global_store_dword v[4:5], v10, off offset:1056
	global_store_dword v[4:5], v11, off offset:1232
	s_waitcnt lgkmcnt(0)
	global_store_dword v[4:5], v8, off offset:1408
	ds_read2_b32 v[6:7], v12 offset0:184 offset1:228
	v_add_u32_e32 v12, 0x800, v40
	ds_read2_b32 v[10:11], v12 offset0:16 offset1:60
	global_store_dword v[4:5], v9, off offset:1584
	ds_read2_b32 v[8:9], v12 offset0:104 offset1:148
	s_waitcnt lgkmcnt(2)
	global_store_dword v[4:5], v6, off offset:1760
	global_store_dword v[4:5], v7, off offset:1936
	s_waitcnt lgkmcnt(1)
	global_store_dword v[4:5], v10, off offset:2112
	global_store_dword v[4:5], v11, off offset:2288
	s_waitcnt lgkmcnt(0)
	global_store_dword v[4:5], v8, off offset:2464
	ds_read2_b32 v[6:7], v12 offset0:192 offset1:236
	v_add_u32_e32 v8, 0xc00, v40
	ds_read2_b32 v[10:11], v8 offset0:24 offset1:68
	ds_read_b32 v8, v40 offset:3520
	v_cmp_eq_u32_e32 vcc, 43, v0
	global_store_dword v[4:5], v9, off offset:2640
	s_waitcnt lgkmcnt(2)
	global_store_dword v[4:5], v6, off offset:2816
	global_store_dword v[4:5], v7, off offset:2992
	s_waitcnt lgkmcnt(1)
	global_store_dword v[4:5], v10, off offset:3168
	;; [unrolled: 3-line block ×3, first 2 shown]
	s_and_b64 exec, exec, vcc
	s_cbranch_execz .LBB0_32
; %bb.31:
	ds_read_b32 v0, v1 offset:3696
	s_waitcnt lgkmcnt(0)
	global_store_dword v[2:3], v0, off offset:3696
.LBB0_32:
	s_endpgm
	.section	.rodata,"a",@progbits
	.p2align	6, 0x0
	.amdhsa_kernel fft_rtc_fwd_len924_factors_2_2_3_7_11_wgs_44_tpt_44_halfLds_half_ip_CI_unitstride_sbrr_R2C_dirReg
		.amdhsa_group_segment_fixed_size 0
		.amdhsa_private_segment_fixed_size 0
		.amdhsa_kernarg_size 88
		.amdhsa_user_sgpr_count 6
		.amdhsa_user_sgpr_private_segment_buffer 1
		.amdhsa_user_sgpr_dispatch_ptr 0
		.amdhsa_user_sgpr_queue_ptr 0
		.amdhsa_user_sgpr_kernarg_segment_ptr 1
		.amdhsa_user_sgpr_dispatch_id 0
		.amdhsa_user_sgpr_flat_scratch_init 0
		.amdhsa_user_sgpr_private_segment_size 0
		.amdhsa_uses_dynamic_stack 0
		.amdhsa_system_sgpr_private_segment_wavefront_offset 0
		.amdhsa_system_sgpr_workgroup_id_x 1
		.amdhsa_system_sgpr_workgroup_id_y 0
		.amdhsa_system_sgpr_workgroup_id_z 0
		.amdhsa_system_sgpr_workgroup_info 0
		.amdhsa_system_vgpr_workitem_id 0
		.amdhsa_next_free_vgpr 119
		.amdhsa_next_free_sgpr 24
		.amdhsa_reserve_vcc 1
		.amdhsa_reserve_flat_scratch 0
		.amdhsa_float_round_mode_32 0
		.amdhsa_float_round_mode_16_64 0
		.amdhsa_float_denorm_mode_32 3
		.amdhsa_float_denorm_mode_16_64 3
		.amdhsa_dx10_clamp 1
		.amdhsa_ieee_mode 1
		.amdhsa_fp16_overflow 0
		.amdhsa_exception_fp_ieee_invalid_op 0
		.amdhsa_exception_fp_denorm_src 0
		.amdhsa_exception_fp_ieee_div_zero 0
		.amdhsa_exception_fp_ieee_overflow 0
		.amdhsa_exception_fp_ieee_underflow 0
		.amdhsa_exception_fp_ieee_inexact 0
		.amdhsa_exception_int_div_zero 0
	.end_amdhsa_kernel
	.text
.Lfunc_end0:
	.size	fft_rtc_fwd_len924_factors_2_2_3_7_11_wgs_44_tpt_44_halfLds_half_ip_CI_unitstride_sbrr_R2C_dirReg, .Lfunc_end0-fft_rtc_fwd_len924_factors_2_2_3_7_11_wgs_44_tpt_44_halfLds_half_ip_CI_unitstride_sbrr_R2C_dirReg
                                        ; -- End function
	.section	.AMDGPU.csdata,"",@progbits
; Kernel info:
; codeLenInByte = 15656
; NumSgprs: 28
; NumVgprs: 119
; ScratchSize: 0
; MemoryBound: 0
; FloatMode: 240
; IeeeMode: 1
; LDSByteSize: 0 bytes/workgroup (compile time only)
; SGPRBlocks: 3
; VGPRBlocks: 29
; NumSGPRsForWavesPerEU: 28
; NumVGPRsForWavesPerEU: 119
; Occupancy: 2
; WaveLimiterHint : 1
; COMPUTE_PGM_RSRC2:SCRATCH_EN: 0
; COMPUTE_PGM_RSRC2:USER_SGPR: 6
; COMPUTE_PGM_RSRC2:TRAP_HANDLER: 0
; COMPUTE_PGM_RSRC2:TGID_X_EN: 1
; COMPUTE_PGM_RSRC2:TGID_Y_EN: 0
; COMPUTE_PGM_RSRC2:TGID_Z_EN: 0
; COMPUTE_PGM_RSRC2:TIDIG_COMP_CNT: 0
	.type	__hip_cuid_c09505c90ba9bc16,@object ; @__hip_cuid_c09505c90ba9bc16
	.section	.bss,"aw",@nobits
	.globl	__hip_cuid_c09505c90ba9bc16
__hip_cuid_c09505c90ba9bc16:
	.byte	0                               ; 0x0
	.size	__hip_cuid_c09505c90ba9bc16, 1

	.ident	"AMD clang version 19.0.0git (https://github.com/RadeonOpenCompute/llvm-project roc-6.4.0 25133 c7fe45cf4b819c5991fe208aaa96edf142730f1d)"
	.section	".note.GNU-stack","",@progbits
	.addrsig
	.addrsig_sym __hip_cuid_c09505c90ba9bc16
	.amdgpu_metadata
---
amdhsa.kernels:
  - .args:
      - .actual_access:  read_only
        .address_space:  global
        .offset:         0
        .size:           8
        .value_kind:     global_buffer
      - .offset:         8
        .size:           8
        .value_kind:     by_value
      - .actual_access:  read_only
        .address_space:  global
        .offset:         16
        .size:           8
        .value_kind:     global_buffer
      - .actual_access:  read_only
        .address_space:  global
        .offset:         24
        .size:           8
        .value_kind:     global_buffer
      - .offset:         32
        .size:           8
        .value_kind:     by_value
      - .actual_access:  read_only
        .address_space:  global
        .offset:         40
        .size:           8
        .value_kind:     global_buffer
      - .actual_access:  read_only
        .address_space:  global
        .offset:         48
        .size:           8
        .value_kind:     global_buffer
      - .offset:         56
        .size:           4
        .value_kind:     by_value
      - .actual_access:  read_only
        .address_space:  global
        .offset:         64
        .size:           8
        .value_kind:     global_buffer
      - .actual_access:  read_only
        .address_space:  global
        .offset:         72
        .size:           8
        .value_kind:     global_buffer
      - .address_space:  global
        .offset:         80
        .size:           8
        .value_kind:     global_buffer
    .group_segment_fixed_size: 0
    .kernarg_segment_align: 8
    .kernarg_segment_size: 88
    .language:       OpenCL C
    .language_version:
      - 2
      - 0
    .max_flat_workgroup_size: 44
    .name:           fft_rtc_fwd_len924_factors_2_2_3_7_11_wgs_44_tpt_44_halfLds_half_ip_CI_unitstride_sbrr_R2C_dirReg
    .private_segment_fixed_size: 0
    .sgpr_count:     28
    .sgpr_spill_count: 0
    .symbol:         fft_rtc_fwd_len924_factors_2_2_3_7_11_wgs_44_tpt_44_halfLds_half_ip_CI_unitstride_sbrr_R2C_dirReg.kd
    .uniform_work_group_size: 1
    .uses_dynamic_stack: false
    .vgpr_count:     119
    .vgpr_spill_count: 0
    .wavefront_size: 64
amdhsa.target:   amdgcn-amd-amdhsa--gfx906
amdhsa.version:
  - 1
  - 2
...

	.end_amdgpu_metadata
